;; amdgpu-corpus repo=ROCm/rocFFT kind=compiled arch=gfx950 opt=O3
	.text
	.amdgcn_target "amdgcn-amd-amdhsa--gfx950"
	.amdhsa_code_object_version 6
	.protected	bluestein_single_fwd_len1156_dim1_sp_op_CI_CI ; -- Begin function bluestein_single_fwd_len1156_dim1_sp_op_CI_CI
	.globl	bluestein_single_fwd_len1156_dim1_sp_op_CI_CI
	.p2align	8
	.type	bluestein_single_fwd_len1156_dim1_sp_op_CI_CI,@function
bluestein_single_fwd_len1156_dim1_sp_op_CI_CI: ; @bluestein_single_fwd_len1156_dim1_sp_op_CI_CI
; %bb.0:
	s_load_dwordx4 s[4:7], s[0:1], 0x28
	v_mul_u32_u24_e32 v1, 0x3c4, v0
	v_lshrrev_b32_e32 v2, 16, v1
	v_mad_u64_u32 v[58:59], s[2:3], s2, 3, v[2:3]
	v_mov_b32_e32 v51, 0
	v_mov_b32_e32 v59, v51
	s_waitcnt lgkmcnt(0)
	v_cmp_gt_u64_e32 vcc, s[4:5], v[58:59]
	s_and_saveexec_b64 s[2:3], vcc
	s_cbranch_execz .LBB0_18
; %bb.1:
	s_load_dwordx4 s[8:11], s[0:1], 0x0
	s_load_dwordx4 s[12:15], s[0:1], 0x18
	v_mov_b32_e32 v4, s6
	v_mov_b32_e32 v5, s7
	v_mul_lo_u16_e32 v1, 0x44, v2
	s_mov_b32 s2, 0xaaaaaaab
	s_waitcnt lgkmcnt(0)
	s_load_dwordx4 s[4:7], s[14:15], 0x0
	v_sub_u16_e32 v50, v0, v1
	s_load_dwordx4 s[12:15], s[12:13], 0x0
	v_mul_hi_u32 v0, v58, s2
	v_lshrrev_b32_e32 v0, 1, v0
	v_lshl_add_u32 v40, v0, 1, v0
	v_accvgpr_write_b32 a18, v58
	s_waitcnt lgkmcnt(0)
	v_mad_u64_u32 v[0:1], s[2:3], s14, v58, 0
	v_mov_b32_e32 v2, v1
	v_mad_u64_u32 v[2:3], s[2:3], s15, v58, v[2:3]
	v_mov_b32_e32 v1, v2
	;; [unrolled: 2-line block ×4, first 2 shown]
	v_lshl_add_u64 v[0:1], v[0:1], 3, v[4:5]
	v_lshl_add_u64 v[4:5], v[2:3], 3, v[0:1]
	v_lshlrev_b32_e32 v2, 3, v50
	v_mov_b32_e32 v3, v51
	v_lshl_add_u64 v[6:7], s[8:9], 0, v[2:3]
	v_mov_b32_e32 v3, 0x220
	global_load_dwordx2 v[0:1], v[4:5], off
	v_mad_u64_u32 v[4:5], s[2:3], s12, v3, v[4:5]
	s_mul_i32 s2, s13, 0x220
	s_nop 0
	v_add_u32_e32 v5, s2, v5
	v_mad_u64_u32 v[8:9], s[14:15], s12, v3, v[4:5]
	v_add_u32_e32 v9, s2, v9
	v_mad_u64_u32 v[10:11], s[14:15], s12, v3, v[8:9]
	;; [unrolled: 2-line block ×3, first 2 shown]
	v_add_u32_e32 v13, s2, v13
	global_load_dwordx2 v[76:77], v2, s[8:9]
	global_load_dwordx2 v[74:75], v2, s[8:9] offset:544
	global_load_dwordx2 v[68:69], v2, s[8:9] offset:1088
	;; [unrolled: 1-line block ×3, first 2 shown]
	global_load_dwordx2 v[14:15], v[4:5], off
	global_load_dwordx2 v[16:17], v[8:9], off
	global_load_dwordx2 v[18:19], v[10:11], off
	global_load_dwordx2 v[20:21], v[12:13], off
	v_mad_u64_u32 v[4:5], s[14:15], s12, v3, v[12:13]
	v_add_u32_e32 v5, s2, v5
	global_load_dwordx2 v[8:9], v[4:5], off
	v_mad_u64_u32 v[4:5], s[14:15], s12, v3, v[4:5]
	v_add_u32_e32 v5, s2, v5
	global_load_dwordx2 v[10:11], v[4:5], off
	v_mad_u64_u32 v[4:5], s[14:15], s12, v3, v[4:5]
	v_add_u32_e32 v5, s2, v5
	global_load_dwordx2 v[12:13], v[4:5], off
	global_load_dwordx2 v[72:73], v2, s[8:9] offset:2176
	global_load_dwordx2 v[70:71], v2, s[8:9] offset:2720
	;; [unrolled: 1-line block ×4, first 2 shown]
	v_mad_u64_u32 v[4:5], s[14:15], s12, v3, v[4:5]
	v_add_u32_e32 v5, s2, v5
	global_load_dwordx2 v[22:23], v[4:5], off
	v_mad_u64_u32 v[4:5], s[14:15], s12, v3, v[4:5]
	s_movk_i32 s3, 0x1000
	v_add_u32_e32 v5, s2, v5
	v_add_co_u32_e32 v24, vcc, s3, v6
	global_load_dwordx2 v[26:27], v[4:5], off
	v_mad_u64_u32 v[4:5], s[14:15], s12, v3, v[4:5]
	v_addc_co_u32_e32 v25, vcc, 0, v7, vcc
	v_add_u32_e32 v5, s2, v5
	global_load_dwordx2 v[64:65], v[24:25], off offset:256
	global_load_dwordx2 v[28:29], v[4:5], off
	v_mad_u64_u32 v[4:5], s[14:15], s12, v3, v[4:5]
	v_add_u32_e32 v5, s2, v5
	global_load_dwordx2 v[60:61], v[24:25], off offset:800
	global_load_dwordx2 v[30:31], v[4:5], off
	global_load_dwordx2 v[54:55], v[24:25], off offset:1344
	global_load_dwordx2 v[46:47], v[24:25], off offset:1888
	v_mad_u64_u32 v[4:5], s[14:15], s12, v3, v[4:5]
	v_add_u32_e32 v5, s2, v5
	global_load_dwordx2 v[32:33], v[4:5], off
	v_mad_u64_u32 v[4:5], s[14:15], s12, v3, v[4:5]
	v_add_u32_e32 v5, s2, v5
	global_load_dwordx2 v[34:35], v[4:5], off
	v_mad_u64_u32 v[4:5], s[14:15], s12, v3, v[4:5]
	v_add_u32_e32 v5, s2, v5
	global_load_dwordx2 v[52:53], v[24:25], off offset:2432
	global_load_dwordx2 v[36:37], v[4:5], off
	global_load_dwordx2 v[48:49], v[24:25], off offset:2976
	v_mad_u64_u32 v[4:5], s[14:15], s12, v3, v[4:5]
	v_add_u32_e32 v5, s2, v5
	global_load_dwordx2 v[38:39], v[4:5], off
	global_load_dwordx2 v[44:45], v[24:25], off offset:3520
	global_load_dwordx2 v[42:43], v[24:25], off offset:4064
	v_mad_u64_u32 v[4:5], s[12:13], s12, v3, v[4:5]
	v_add_u32_e32 v5, s2, v5
	s_movk_i32 s2, 0x2000
	v_add_co_u32_e32 v6, vcc, s2, v6
	global_load_dwordx2 v[4:5], v[4:5], off
	s_nop 0
	v_addc_co_u32_e32 v7, vcc, 0, v7, vcc
	global_load_dwordx2 v[24:25], v[6:7], off offset:512
	v_sub_u32_e32 v3, v58, v40
	v_mul_u32_u24_e32 v3, 0x484, v3
	v_lshlrev_b32_e32 v58, 3, v3
	v_add_u32_e32 v205, v2, v58
	v_add_u32_e32 v202, 0x800, v205
	;; [unrolled: 1-line block ×3, first 2 shown]
	v_mov_b64_e32 v[78:79], v[50:51]
	s_mov_b32 s12, 0xbf2c7751
	s_mov_b32 s2, 0xbeb8f4ab
	s_mov_b32 s26, 0x3f3d2fb0
	s_mov_b32 s3, 0x3f6eb680
	s_mov_b32 s14, s3
	s_mov_b32 s15, s2
	s_mov_b32 s16, 0xbf65296c
	s_waitcnt vmcnt(32)
	v_mul_f32_e32 v6, v1, v77
	v_fmac_f32_e32 v6, v0, v76
	v_mul_f32_e32 v0, v0, v77
	v_fma_f32 v7, v1, v76, -v0
	s_waitcnt vmcnt(28)
	v_mul_f32_e32 v0, v15, v75
	v_mul_f32_e32 v1, v14, v75
	v_fmac_f32_e32 v0, v14, v74
	v_fma_f32 v1, v15, v74, -v1
	ds_write2_b64 v205, v[6:7], v[0:1] offset1:68
	s_waitcnt vmcnt(27)
	v_mul_f32_e32 v0, v17, v69
	v_mul_f32_e32 v1, v16, v69
	s_waitcnt vmcnt(26)
	v_mul_f32_e32 v2, v19, v67
	v_mul_f32_e32 v3, v18, v67
	v_fmac_f32_e32 v0, v16, v68
	v_fma_f32 v1, v17, v68, -v1
	v_fmac_f32_e32 v2, v18, v66
	v_fma_f32 v3, v19, v66, -v3
	ds_write2_b64 v205, v[0:1], v[2:3] offset0:136 offset1:204
	s_waitcnt vmcnt(21)
	v_mul_f32_e32 v0, v21, v73
	v_mul_f32_e32 v1, v20, v73
	s_waitcnt vmcnt(20)
	v_mul_f32_e32 v2, v9, v71
	v_mul_f32_e32 v3, v8, v71
	v_fmac_f32_e32 v0, v20, v72
	v_fma_f32 v1, v21, v72, -v1
	v_fmac_f32_e32 v2, v8, v70
	v_fma_f32 v3, v9, v70, -v3
	ds_write2_b64 v202, v[0:1], v[2:3] offset0:16 offset1:84
	;; [unrolled: 11-line block ×5, first 2 shown]
	s_waitcnt vmcnt(7)
	v_mul_f32_e32 v0, v33, v53
	v_mul_f32_e32 v1, v32, v53
	s_waitcnt vmcnt(5)
	v_mul_f32_e32 v2, v35, v49
	v_mul_f32_e32 v3, v34, v49
	v_fmac_f32_e32 v0, v32, v52
	v_fma_f32 v1, v33, v52, -v1
	v_fmac_f32_e32 v2, v34, v48
	v_fma_f32 v3, v35, v48, -v3
	v_add_u32_e32 v34, 0x1800, v205
	ds_write2_b64 v34, v[0:1], v[2:3] offset0:48 offset1:116
	s_waitcnt vmcnt(3)
	v_mul_f32_e32 v0, v37, v45
	v_mul_f32_e32 v1, v36, v45
	s_waitcnt vmcnt(2)
	v_mul_f32_e32 v2, v39, v43
	v_mul_f32_e32 v3, v38, v43
	v_fmac_f32_e32 v0, v36, v44
	v_fma_f32 v1, v37, v44, -v1
	v_fmac_f32_e32 v2, v38, v42
	v_fma_f32 v3, v39, v42, -v3
	ds_write2_b64 v34, v[0:1], v[2:3] offset0:184 offset1:252
	s_waitcnt vmcnt(0)
	v_mul_f32_e32 v0, v5, v25
	v_mul_f32_e32 v1, v4, v25
	v_fmac_f32_e32 v0, v4, v24
	v_accvgpr_write_b32 a0, v24
	v_fma_f32 v1, v5, v24, -v1
	v_accvgpr_write_b32 a1, v25
	ds_write_b64 v205, v[0:1] offset:8704
	s_waitcnt lgkmcnt(0)
	s_barrier
	ds_read2_b64 v[4:7], v202 offset0:16 offset1:84
	ds_read2_b64 v[8:11], v34 offset0:48 offset1:116
	ds_read2_b64 v[0:3], v205 offset1:68
	ds_read2_b64 v[12:15], v202 offset0:152 offset1:220
	ds_read2_b64 v[16:19], v203 offset0:32 offset1:100
	;; [unrolled: 1-line block ×4, first 2 shown]
	s_waitcnt lgkmcnt(4)
	v_pk_add_f32 v[28:29], v[0:1], v[2:3]
	v_accvgpr_write_b32 a4, v44
	v_accvgpr_write_b32 a6, v46
	;; [unrolled: 1-line block ×3, first 2 shown]
	s_waitcnt lgkmcnt(0)
	v_pk_add_f32 v[28:29], v[28:29], v[24:25]
	v_pk_add_f32 v[40:41], v[10:11], v[4:5]
	;; [unrolled: 1-line block ×3, first 2 shown]
	v_pk_add_f32 v[44:45], v[4:5], v[10:11] neg_lo:[0,1] neg_hi:[0,1]
	v_pk_add_f32 v[4:5], v[28:29], v[4:5]
	v_accvgpr_write_b32 a7, v47
	v_pk_add_f32 v[46:47], v[8:9], v[6:7]
	v_pk_add_f32 v[50:51], v[6:7], v[8:9] neg_lo:[0,1] neg_hi:[0,1]
	v_pk_add_f32 v[4:5], v[4:5], v[6:7]
	ds_read_b64 v[6:7], v205 offset:8704
	v_pk_add_f32 v[4:5], v[4:5], v[12:13]
	v_accvgpr_write_b32 a16, v56
	v_pk_add_f32 v[4:5], v[4:5], v[14:15]
	v_accvgpr_write_b32 a12, v52
	;; [unrolled: 2-line block ×3, first 2 shown]
	v_accvgpr_write_b32 a13, v53
	v_pk_add_f32 v[52:53], v[22:23], v[12:13]
	v_pk_add_f32 v[56:57], v[12:13], v[22:23] neg_lo:[0,1] neg_hi:[0,1]
	v_pk_add_f32 v[112:113], v[20:21], v[14:15]
	v_pk_add_f32 v[114:115], v[14:15], v[20:21] neg_lo:[0,1] neg_hi:[0,1]
	ds_read2_b64 v[12:15], v34 offset0:184 offset1:252
	v_pk_add_f32 v[4:5], v[4:5], v[18:19]
	v_pk_add_f32 v[110:111], v[18:19], v[16:17]
	v_pk_add_f32 v[120:121], v[16:17], v[18:19] neg_lo:[0,1] neg_hi:[0,1]
	s_waitcnt lgkmcnt(1)
	v_pk_add_f32 v[122:123], v[6:7], v[2:3]
	v_pk_add_f32 v[16:17], v[2:3], v[6:7] neg_lo:[0,1] neg_hi:[0,1]
	v_pk_add_f32 v[2:3], v[4:5], v[20:21]
	s_waitcnt lgkmcnt(0)
	v_pk_add_f32 v[116:117], v[24:25], v[14:15] neg_lo:[0,1] neg_hi:[0,1]
	v_pk_add_f32 v[2:3], v[2:3], v[22:23]
	v_pk_add_f32 v[118:119], v[14:15], v[24:25]
	;; [unrolled: 1-line block ×3, first 2 shown]
	v_accvgpr_write_b32 a20, v60
	v_pk_add_f32 v[2:3], v[2:3], v[10:11]
	v_accvgpr_write_b32 a21, v61
	v_pk_add_f32 v[2:3], v[2:3], v[12:13]
	v_pk_add_f32 v[126:127], v[26:27], v[12:13] neg_lo:[0,1] neg_hi:[0,1]
	v_pk_add_f32 v[2:3], v[2:3], v[14:15]
	v_pk_add_f32 v[124:125], v[12:13], v[26:27]
	;; [unrolled: 1-line block ×3, first 2 shown]
	v_pk_mul_f32 v[2:3], v[116:117], s[12:13] op_sel:[1,0] op_sel_hi:[0,0]
	v_pk_fma_f32 v[4:5], v[118:119], s[26:27], v[2:3] op_sel_hi:[1,0,1]
	v_pk_fma_f32 v[14:15], v[118:119], s[26:27], v[2:3] op_sel_hi:[1,0,1] neg_lo:[0,0,1] neg_hi:[0,0,1]
	v_mov_b32_e32 v3, v123
	v_mov_b32_e32 v123, v16
	;; [unrolled: 1-line block ×3, first 2 shown]
	v_pk_mul_f32 v[60:61], v[122:123], s[14:15]
	s_mov_b32 s34, 0x3ee437d1
	v_pk_fma_f32 v[10:11], v[2:3], s[2:3], v[60:61] neg_lo:[1,0,0] neg_hi:[1,0,0]
	v_pk_fma_f32 v[8:9], v[2:3], s[2:3], v[60:61]
	v_pk_mul_f32 v[16:17], v[126:127], s[16:17] op_sel_hi:[1,0]
	v_mov_b32_e32 v11, v9
	v_pk_add_f32 v[12:13], v[0:1], v[10:11]
	v_mov_b32_e32 v11, v15
	v_mov_b32_e32 v15, v5
	;; [unrolled: 1-line block ×3, first 2 shown]
	v_pk_fma_f32 v[4:5], v[124:125], s[34:35], v[16:17] op_sel:[0,0,1] op_sel_hi:[1,0,0]
	v_pk_fma_f32 v[16:17], v[124:125], s[34:35], v[16:17] op_sel:[0,0,1] op_sel_hi:[1,0,0] neg_lo:[0,0,1] neg_hi:[0,0,1]
	v_pk_add_f32 v[14:15], v[14:15], v[12:13]
	v_mov_b32_e32 v13, v17
	v_mov_b32_e32 v17, v5
	s_mov_b32 s14, 0xbf7ee86f
	v_pk_add_f32 v[18:19], v[16:17], v[14:15]
	s_mov_b32 s30, 0x3dbcf732
	v_pk_mul_f32 v[14:15], v[44:45], s[14:15] op_sel_hi:[1,0]
	s_mov_b32 s22, 0xbf763a35
	v_pk_fma_f32 v[16:17], v[40:41], s[30:31], v[14:15] op_sel:[0,0,1] op_sel_hi:[1,0,0]
	v_pk_fma_f32 v[20:21], v[40:41], s[30:31], v[14:15] op_sel:[0,0,1] op_sel_hi:[1,0,0] neg_lo:[0,0,1] neg_hi:[0,0,1]
	s_mov_b32 s38, 0xbe8c1d8e
	v_mov_b32_e32 v15, v21
	v_mov_b32_e32 v21, v17
	v_pk_mul_f32 v[22:23], v[50:51], s[22:23] op_sel_hi:[1,0]
	v_pk_add_f32 v[20:21], v[20:21], v[18:19]
	v_pk_fma_f32 v[18:19], v[46:47], s[38:39], v[22:23] op_sel:[0,0,1] op_sel_hi:[1,0,0]
	v_pk_fma_f32 v[22:23], v[46:47], s[38:39], v[22:23] op_sel:[0,0,1] op_sel_hi:[1,0,0] neg_lo:[0,0,1] neg_hi:[0,0,1]
	s_mov_b32 s18, 0xbf4c4adb
	v_mov_b32_e32 v17, v23
	v_mov_b32_e32 v23, v19
	s_mov_b32 s42, 0xbf1a4643
	v_pk_mul_f32 v[24:25], v[56:57], s[18:19] op_sel_hi:[1,0]
	v_pk_add_f32 v[22:23], v[22:23], v[20:21]
	v_pk_fma_f32 v[20:21], v[52:53], s[42:43], v[24:25] op_sel:[0,0,1] op_sel_hi:[1,0,0]
	v_pk_fma_f32 v[24:25], v[52:53], s[42:43], v[24:25] op_sel:[0,0,1] op_sel_hi:[1,0,0] neg_lo:[0,0,1] neg_hi:[0,0,1]
	s_mov_b32 s24, 0xbf06c442
	v_mov_b32_e32 v19, v25
	v_mov_b32_e32 v25, v21
	s_mov_b32 s36, 0xbf59a7d5
	v_pk_mul_f32 v[26:27], v[114:115], s[24:25] op_sel_hi:[1,0]
	s_mov_b32 s20, 0xbe3c28d5
	v_pk_add_f32 v[24:25], v[24:25], v[22:23]
	v_pk_fma_f32 v[22:23], v[112:113], s[36:37], v[26:27] op_sel:[0,0,1] op_sel_hi:[1,0,0]
	v_pk_fma_f32 v[26:27], v[112:113], s[36:37], v[26:27] op_sel:[0,0,1] op_sel_hi:[1,0,0] neg_lo:[0,0,1] neg_hi:[0,0,1]
	s_mov_b32 s44, 0xbf7ba420
	v_pk_mul_f32 v[30:31], v[120:121], s[20:21] op_sel_hi:[1,0]
	v_mov_b32_e32 v12, v4
	v_mov_b32_e32 v21, v27
	;; [unrolled: 1-line block ×3, first 2 shown]
	v_pk_fma_f32 v[4:5], v[110:111], s[44:45], v[30:31] op_sel:[0,0,1] op_sel_hi:[1,0,0]
	v_pk_fma_f32 v[30:31], v[110:111], s[44:45], v[30:31] op_sel:[0,0,1] op_sel_hi:[1,0,0] neg_lo:[0,0,1] neg_hi:[0,0,1]
	v_pk_add_f32 v[26:27], v[26:27], v[24:25]
	v_mov_b32_e32 v23, v31
	v_mov_b32_e32 v31, v5
	v_accvgpr_write_b32 a38, v4
	v_mul_lo_u16_e32 v4, 17, v78
	v_pk_add_f32 v[26:27], v[30:31], v[26:27]
	v_lshl_add_u32 v204, v4, 3, v58
	s_mov_b32 s27, s12
	s_barrier
	ds_write2_b64 v204, v[28:29], v[26:27] offset1:1
	s_mov_b32 s13, s26
	v_pk_mul_f32 v[28:29], v[122:123], s[26:27]
	v_mov_b32_e32 v31, v119
	v_mov_b32_e32 v119, v116
	s_mov_b32 s31, s14
	v_pk_fma_f32 v[36:37], v[2:3], s[12:13], v[28:29] neg_lo:[1,0,0] neg_hi:[1,0,0]
	v_pk_fma_f32 v[26:27], v[2:3], s[12:13], v[28:29]
	v_mov_b32_e32 v30, v117
	s_mov_b32 s15, s30
	v_pk_mul_f32 v[24:25], v[118:119], s[30:31]
	v_mov_b32_e32 v37, v27
	v_pk_fma_f32 v[38:39], v[116:117], s[14:15], v[24:25] op_sel:[1,0,0] op_sel_hi:[0,1,1] neg_lo:[1,0,0] neg_hi:[1,0,0]
	v_pk_fma_f32 v[32:33], v[30:31], s[14:15], v[24:25]
	v_accvgpr_write_b32 a2, v42
	v_mov_b32_e32 v39, v33
	v_pk_add_f32 v[36:37], v[0:1], v[36:37]
	v_accvgpr_write_b32 a8, v48
	v_accvgpr_write_b32 a3, v43
	v_pk_add_f32 v[42:43], v[38:39], v[36:37]
	v_pk_mul_f32 v[38:39], v[126:127], s[18:19] op_sel_hi:[1,0]
	v_accvgpr_write_b32 a9, v49
	v_pk_fma_f32 v[48:49], v[124:125], s[42:43], v[38:39] op_sel:[0,0,1] op_sel_hi:[1,0,0] neg_lo:[0,0,1] neg_hi:[0,0,1]
	v_pk_fma_f32 v[38:39], v[124:125], s[42:43], v[38:39] op_sel:[0,0,1] op_sel_hi:[1,0,0]
	v_mov_b32_e32 v35, v49
	v_mov_b32_e32 v49, v39
	v_pk_add_f32 v[48:49], v[48:49], v[42:43]
	v_pk_mul_f32 v[42:43], v[44:45], s[20:21] op_sel_hi:[1,0]
	v_accvgpr_write_b32 a14, v54
	v_pk_fma_f32 v[36:37], v[40:41], s[44:45], v[42:43] op_sel:[0,0,1] op_sel_hi:[1,0,0] neg_lo:[0,0,1] neg_hi:[0,0,1]
	v_pk_fma_f32 v[42:43], v[40:41], s[44:45], v[42:43] op_sel:[0,0,1] op_sel_hi:[1,0,0]
	v_accvgpr_write_b32 a15, v55
	v_mov_b32_e32 v54, v36
	v_mov_b32_e32 v55, v43
	s_mov_b32 s28, 0x3f06c442
	v_accvgpr_write_b32 a22, v62
	v_pk_add_f32 v[54:55], v[54:55], v[48:49]
	v_pk_mul_f32 v[48:49], v[50:51], s[28:29] op_sel_hi:[1,0]
	v_accvgpr_write_b32 a23, v63
	v_pk_fma_f32 v[62:63], v[46:47], s[36:37], v[48:49] op_sel:[0,0,1] op_sel_hi:[1,0,0] neg_lo:[0,0,1] neg_hi:[0,0,1]
	v_pk_fma_f32 v[48:49], v[46:47], s[36:37], v[48:49] op_sel:[0,0,1] op_sel_hi:[1,0,0]
	v_accvgpr_write_b32 a19, v58
	v_mov_b32_e32 v58, v62
	v_mov_b32_e32 v59, v49
	s_mov_b32 s40, 0x3f763a35
	v_pk_add_f32 v[58:59], v[58:59], v[54:55]
	v_pk_mul_f32 v[54:55], v[56:57], s[40:41] op_sel_hi:[1,0]
	v_accvgpr_write_b32 a24, v64
	v_pk_fma_f32 v[104:105], v[52:53], s[38:39], v[54:55] op_sel:[0,0,1] op_sel_hi:[1,0,0] neg_lo:[0,0,1] neg_hi:[0,0,1]
	v_pk_fma_f32 v[54:55], v[52:53], s[38:39], v[54:55] op_sel:[0,0,1] op_sel_hi:[1,0,0]
	v_accvgpr_write_b32 a25, v65
	v_mov_b32_e32 v64, v104
	v_mov_b32_e32 v65, v55
	s_mov_b32 s46, 0x3f65296c
	;; [unrolled: 9-line block ×3, first 2 shown]
	v_pk_add_f32 v[64:65], v[66:67], v[64:65]
	s_mov_b32 s50, s3
	v_pk_mul_f32 v[66:67], v[120:121], s[48:49] op_sel_hi:[1,0]
	s_mov_b32 s35, s16
	v_pk_fma_f32 v[108:109], v[110:111], s[50:51], v[66:67] op_sel:[0,0,1] op_sel_hi:[1,0,0] neg_lo:[0,0,1] neg_hi:[0,0,1]
	v_pk_fma_f32 v[102:103], v[110:111], s[50:51], v[66:67] op_sel:[0,0,1] op_sel_hi:[1,0,0]
	v_accvgpr_write_b32 a28, v68
	v_mov_b32_e32 v66, v108
	v_mov_b32_e32 v67, v103
	s_mov_b32 s17, s34
	v_pk_mul_f32 v[130:131], v[122:123], s[34:35]
	s_mov_b32 s43, s18
	v_accvgpr_write_b32 a29, v69
	v_pk_add_f32 v[68:69], v[66:67], v[64:65]
	v_pk_fma_f32 v[64:65], v[2:3], s[16:17], v[130:131] neg_lo:[1,0,0] neg_hi:[1,0,0]
	v_pk_fma_f32 v[128:129], v[2:3], s[16:17], v[130:131]
	s_mov_b32 s19, s42
	v_pk_mul_f32 v[134:135], v[118:119], s[42:43]
	v_mov_b32_e32 v65, v129
	v_pk_fma_f32 v[66:67], v[116:117], s[18:19], v[134:135] op_sel:[1,0,0] op_sel_hi:[0,1,1] neg_lo:[1,0,0] neg_hi:[1,0,0]
	v_pk_fma_f32 v[132:133], v[30:31], s[18:19], v[134:135]
	v_pk_add_f32 v[64:65], v[0:1], v[64:65]
	v_mov_b32_e32 v67, v133
	s_mov_b32 s52, 0x3e3c28d5
	v_pk_add_f32 v[64:65], v[66:67], v[64:65]
	v_pk_mul_f32 v[66:67], v[126:127], s[52:53] op_sel_hi:[1,0]
	s_mov_b32 s52, 0x3f2c7751
	v_pk_fma_f32 v[136:137], v[124:125], s[44:45], v[66:67] op_sel:[0,0,1] op_sel_hi:[1,0,0] neg_lo:[0,0,1] neg_hi:[0,0,1]
	v_pk_fma_f32 v[138:139], v[124:125], s[44:45], v[66:67] op_sel:[0,0,1] op_sel_hi:[1,0,0]
	v_mov_b32_e32 v66, v136
	v_mov_b32_e32 v67, v139
	v_pk_add_f32 v[64:65], v[66:67], v[64:65]
	v_pk_mul_f32 v[66:67], v[44:45], s[40:41] op_sel_hi:[1,0]
	v_accvgpr_write_b32 a30, v70
	v_pk_fma_f32 v[144:145], v[40:41], s[38:39], v[66:67] op_sel:[0,0,1] op_sel_hi:[1,0,0] neg_lo:[0,0,1] neg_hi:[0,0,1]
	v_pk_fma_f32 v[140:141], v[40:41], s[38:39], v[66:67] op_sel:[0,0,1] op_sel_hi:[1,0,0]
	v_mov_b32_e32 v66, v144
	v_mov_b32_e32 v67, v141
	v_pk_add_f32 v[64:65], v[66:67], v[64:65]
	v_pk_mul_f32 v[66:67], v[50:51], s[52:53] op_sel_hi:[1,0]
	v_accvgpr_write_b32 a31, v71
	;; [unrolled: 7-line block ×5, first 2 shown]
	v_pk_fma_f32 v[154:155], v[110:111], s[36:37], v[72:73] op_sel:[0,0,1] op_sel_hi:[1,0,0] neg_lo:[0,0,1] neg_hi:[0,0,1]
	v_pk_fma_f32 v[146:147], v[110:111], s[36:37], v[72:73] op_sel:[0,0,1] op_sel_hi:[1,0,0]
	v_mov_b32_e32 v72, v154
	v_mov_b32_e32 v73, v147
	v_pk_add_f32 v[70:71], v[72:73], v[70:71]
	v_accvgpr_write_b32 a34, v74
	ds_write2_b64 v204, v[68:69], v[70:71] offset0:2 offset1:3
	v_pk_mul_f32 v[70:71], v[122:123], s[30:31]
	s_mov_b32 s45, s20
	v_accvgpr_write_b32 a37, v77
	v_accvgpr_write_b32 a35, v75
	;; [unrolled: 1-line block ×3, first 2 shown]
	v_pk_fma_f32 v[74:75], v[2:3], s[14:15], v[70:71] neg_lo:[1,0,0] neg_hi:[1,0,0]
	v_pk_fma_f32 v[68:69], v[2:3], s[14:15], v[70:71]
	s_mov_b32 s21, s44
	v_pk_mul_f32 v[76:77], v[118:119], s[44:45]
	v_accvgpr_write_b32 a11, v79
	v_mov_b32_e32 v75, v69
	v_pk_fma_f32 v[78:79], v[116:117], s[20:21], v[76:77] op_sel:[1,0,0] op_sel_hi:[0,1,1] neg_lo:[1,0,0] neg_hi:[1,0,0]
	v_pk_fma_f32 v[72:73], v[30:31], s[20:21], v[76:77]
	v_pk_add_f32 v[74:75], v[0:1], v[74:75]
	v_mov_b32_e32 v79, v73
	v_pk_mul_f32 v[80:81], v[126:127], s[40:41] op_sel_hi:[1,0]
	v_pk_add_f32 v[74:75], v[78:79], v[74:75]
	v_pk_fma_f32 v[78:79], v[124:125], s[38:39], v[80:81] op_sel:[0,0,1] op_sel_hi:[1,0,0] neg_lo:[0,0,1] neg_hi:[0,0,1]
	v_pk_fma_f32 v[80:81], v[124:125], s[38:39], v[80:81] op_sel:[0,0,1] op_sel_hi:[1,0,0]
	v_mov_b32_e32 v82, v78
	v_mov_b32_e32 v83, v81
	v_pk_add_f32 v[74:75], v[82:83], v[74:75]
	v_pk_mul_f32 v[82:83], v[44:45], s[48:49] op_sel_hi:[1,0]
	s_mov_b32 s54, 0x3f4c4adb
	v_pk_fma_f32 v[92:93], v[40:41], s[50:51], v[82:83] op_sel:[0,0,1] op_sel_hi:[1,0,0] neg_lo:[0,0,1] neg_hi:[0,0,1]
	v_pk_fma_f32 v[84:85], v[40:41], s[50:51], v[82:83] op_sel:[0,0,1] op_sel_hi:[1,0,0]
	v_mov_b32_e32 v82, v92
	v_mov_b32_e32 v83, v85
	v_pk_add_f32 v[74:75], v[82:83], v[74:75]
	v_pk_mul_f32 v[82:83], v[50:51], s[16:17] op_sel_hi:[1,0]
	s_mov_b32 s39, s22
	;; [unrolled: 7-line block ×3, first 2 shown]
	v_pk_fma_f32 v[98:99], v[52:53], s[36:37], v[82:83] op_sel:[0,0,1] op_sel_hi:[1,0,0] neg_lo:[0,0,1] neg_hi:[0,0,1]
	v_pk_fma_f32 v[88:89], v[52:53], s[36:37], v[82:83] op_sel:[0,0,1] op_sel_hi:[1,0,0]
	v_mov_b32_e32 v82, v98
	v_mov_b32_e32 v83, v89
	v_pk_add_f32 v[74:75], v[82:83], v[74:75]
	v_pk_mul_f32 v[82:83], v[114:115], s[54:55] op_sel_hi:[1,0]
	v_pk_mul_f32 v[160:161], v[122:123], s[38:39]
	v_pk_fma_f32 v[100:101], v[112:113], s[42:43], v[82:83] op_sel:[0,0,1] op_sel_hi:[1,0,0] neg_lo:[0,0,1] neg_hi:[0,0,1]
	v_pk_fma_f32 v[90:91], v[112:113], s[42:43], v[82:83] op_sel:[0,0,1] op_sel_hi:[1,0,0]
	v_mov_b32_e32 v82, v100
	v_mov_b32_e32 v83, v91
	v_pk_add_f32 v[74:75], v[82:83], v[74:75]
	v_pk_mul_f32 v[82:83], v[120:121], s[52:53] op_sel_hi:[1,0]
	s_mov_b32 s37, s28
	v_pk_fma_f32 v[156:157], v[110:111], s[26:27], v[82:83] op_sel:[0,0,1] op_sel_hi:[1,0,0] neg_lo:[0,0,1] neg_hi:[0,0,1]
	v_pk_fma_f32 v[94:95], v[110:111], s[26:27], v[82:83] op_sel:[0,0,1] op_sel_hi:[1,0,0]
	v_mov_b32_e32 v82, v156
	v_mov_b32_e32 v83, v95
	v_pk_add_f32 v[186:187], v[82:83], v[74:75]
	v_pk_fma_f32 v[74:75], v[2:3], s[22:23], v[160:161] neg_lo:[1,0,0] neg_hi:[1,0,0]
	v_pk_fma_f32 v[158:159], v[2:3], s[22:23], v[160:161]
	s_mov_b32 s29, s36
	v_pk_mul_f32 v[164:165], v[118:119], s[36:37]
	v_mov_b32_e32 v75, v159
	v_pk_fma_f32 v[82:83], v[116:117], s[28:29], v[164:165] op_sel:[1,0,0] op_sel_hi:[0,1,1] neg_lo:[1,0,0] neg_hi:[1,0,0]
	v_pk_fma_f32 v[162:163], v[30:31], s[28:29], v[164:165]
	v_pk_add_f32 v[74:75], v[0:1], v[74:75]
	v_mov_b32_e32 v83, v163
	v_pk_add_f32 v[74:75], v[82:83], v[74:75]
	v_pk_mul_f32 v[82:83], v[126:127], s[52:53] op_sel_hi:[1,0]
	s_mov_b32 s56, 0x3f7ee86f
	v_pk_fma_f32 v[166:167], v[124:125], s[26:27], v[82:83] op_sel:[0,0,1] op_sel_hi:[1,0,0] neg_lo:[0,0,1] neg_hi:[0,0,1]
	v_pk_fma_f32 v[168:169], v[124:125], s[26:27], v[82:83] op_sel:[0,0,1] op_sel_hi:[1,0,0]
	v_mov_b32_e32 v82, v166
	v_mov_b32_e32 v83, v169
	v_pk_add_f32 v[74:75], v[82:83], v[74:75]
	v_pk_mul_f32 v[82:83], v[44:45], s[16:17] op_sel_hi:[1,0]
	v_pk_mul_f32 v[174:175], v[56:57], s[56:57] op_sel_hi:[1,0]
	v_pk_fma_f32 v[178:179], v[40:41], s[34:35], v[82:83] op_sel:[0,0,1] op_sel_hi:[1,0,0] neg_lo:[0,0,1] neg_hi:[0,0,1]
	v_pk_fma_f32 v[170:171], v[40:41], s[34:35], v[82:83] op_sel:[0,0,1] op_sel_hi:[1,0,0]
	v_mov_b32_e32 v82, v178
	v_mov_b32_e32 v83, v171
	v_pk_add_f32 v[74:75], v[82:83], v[74:75]
	v_pk_mul_f32 v[82:83], v[50:51], s[20:21] op_sel_hi:[1,0]
	s_mov_b32 s39, s40
	v_pk_fma_f32 v[182:183], v[46:47], s[44:45], v[82:83] op_sel:[0,0,1] op_sel_hi:[1,0,0] neg_lo:[0,0,1] neg_hi:[0,0,1]
	v_pk_fma_f32 v[172:173], v[46:47], s[44:45], v[82:83] op_sel:[0,0,1] op_sel_hi:[1,0,0]
	v_mov_b32_e32 v82, v182
	v_mov_b32_e32 v83, v173
	v_pk_add_f32 v[74:75], v[82:83], v[74:75]
	v_pk_fma_f32 v[82:83], v[52:53], s[30:31], v[174:175] op_sel:[0,0,1] op_sel_hi:[1,0,0] neg_lo:[0,0,1] neg_hi:[0,0,1]
	v_pk_fma_f32 v[174:175], v[52:53], s[30:31], v[174:175] op_sel:[0,0,1] op_sel_hi:[1,0,0]
	v_mov_b32_e32 v176, v82
	v_mov_b32_e32 v177, v175
	v_pk_add_f32 v[180:181], v[176:177], v[74:75]
	v_pk_mul_f32 v[176:177], v[114:115], s[2:3] op_sel_hi:[1,0]
	s_mov_b32 s41, s38
	v_pk_fma_f32 v[74:75], v[112:113], s[50:51], v[176:177] op_sel:[0,0,1] op_sel_hi:[1,0,0] neg_lo:[0,0,1] neg_hi:[0,0,1]
	v_pk_fma_f32 v[176:177], v[112:113], s[50:51], v[176:177] op_sel:[0,0,1] op_sel_hi:[1,0,0]
	v_mov_b32_e32 v184, v74
	v_mov_b32_e32 v185, v177
	v_pk_add_f32 v[188:189], v[184:185], v[180:181]
	v_pk_mul_f32 v[180:181], v[120:121], s[18:19] op_sel_hi:[1,0]
	v_pk_mul_f32 v[192:193], v[118:119], s[38:39]
	v_pk_fma_f32 v[184:185], v[110:111], s[42:43], v[180:181] op_sel:[0,0,1] op_sel_hi:[1,0,0] neg_lo:[0,0,1] neg_hi:[0,0,1]
	v_pk_fma_f32 v[180:181], v[110:111], s[42:43], v[180:181] op_sel:[0,0,1] op_sel_hi:[1,0,0]
	v_mov_b32_e32 v190, v184
	v_mov_b32_e32 v191, v181
	v_pk_add_f32 v[188:189], v[190:191], v[188:189]
	ds_write2_b64 v204, v[186:187], v[188:189] offset0:4 offset1:5
	v_pk_mul_f32 v[188:189], v[122:123], s[42:43]
	v_pk_fma_f32 v[196:197], v[116:117], s[40:41], v[192:193] op_sel:[1,0,0] op_sel_hi:[0,1,1] neg_lo:[1,0,0] neg_hi:[1,0,0]
	v_pk_fma_f32 v[194:195], v[2:3], s[18:19], v[188:189] neg_lo:[1,0,0] neg_hi:[1,0,0]
	v_pk_fma_f32 v[186:187], v[2:3], s[18:19], v[188:189]
	v_pk_fma_f32 v[190:191], v[30:31], s[40:41], v[192:193]
	v_mov_b32_e32 v195, v187
	v_mov_b32_e32 v197, v191
	v_pk_add_f32 v[194:195], v[0:1], v[194:195]
	s_mov_b32 s49, s3
	v_pk_add_f32 v[198:199], v[196:197], v[194:195]
	v_pk_mul_f32 v[196:197], v[126:127], s[2:3] op_sel_hi:[1,0]
	v_mov_b32_e32 v169, v167
	v_pk_fma_f32 v[194:195], v[124:125], s[50:51], v[196:197] op_sel:[0,0,1] op_sel_hi:[1,0,0] neg_lo:[0,0,1] neg_hi:[0,0,1]
	v_pk_fma_f32 v[196:197], v[124:125], s[50:51], v[196:197] op_sel:[0,0,1] op_sel_hi:[1,0,0]
	v_mov_b32_e32 v200, v194
	v_mov_b32_e32 v201, v197
	v_pk_add_f32 v[200:201], v[200:201], v[198:199]
	v_pk_mul_f32 v[198:199], v[44:45], s[24:25] op_sel_hi:[1,0]
	s_mov_b32 s25, s36
	v_pk_fma_f32 v[206:207], v[40:41], s[36:37], v[198:199] op_sel:[0,0,1] op_sel_hi:[1,0,0] neg_lo:[0,0,1] neg_hi:[0,0,1]
	v_pk_fma_f32 v[198:199], v[40:41], s[36:37], v[198:199] op_sel:[0,0,1] op_sel_hi:[1,0,0]
	v_mov_b32_e32 v208, v206
	v_mov_b32_e32 v209, v199
	v_pk_add_f32 v[208:209], v[208:209], v[200:201]
	v_pk_mul_f32 v[200:201], v[50:51], s[56:57] op_sel_hi:[1,0]
	s_mov_b32 s37, s24
	v_pk_fma_f32 v[210:211], v[46:47], s[30:31], v[200:201] op_sel:[0,0,1] op_sel_hi:[1,0,0] neg_lo:[0,0,1] neg_hi:[0,0,1]
	v_pk_fma_f32 v[200:201], v[46:47], s[30:31], v[200:201] op_sel:[0,0,1] op_sel_hi:[1,0,0]
	v_mov_b32_e32 v212, v210
	v_mov_b32_e32 v213, v201
	v_pk_add_f32 v[208:209], v[212:213], v[208:209]
	v_pk_mul_f32 v[212:213], v[56:57], s[12:13] op_sel_hi:[1,0]
	v_mov_b32_e32 v197, v195
	v_pk_fma_f32 v[214:215], v[52:53], s[26:27], v[212:213] op_sel:[0,0,1] op_sel_hi:[1,0,0] neg_lo:[0,0,1] neg_hi:[0,0,1]
	v_pk_fma_f32 v[212:213], v[52:53], s[26:27], v[212:213] op_sel:[0,0,1] op_sel_hi:[1,0,0]
	v_mov_b32_e32 v216, v214
	v_mov_b32_e32 v217, v213
	v_pk_add_f32 v[208:209], v[216:217], v[208:209]
	v_pk_mul_f32 v[216:217], v[114:115], s[20:21] op_sel_hi:[1,0]
	v_mov_b32_e32 v199, v207
	v_pk_fma_f32 v[218:219], v[112:113], s[44:45], v[216:217] op_sel:[0,0,1] op_sel_hi:[1,0,0] neg_lo:[0,0,1] neg_hi:[0,0,1]
	v_pk_fma_f32 v[216:217], v[112:113], s[44:45], v[216:217] op_sel:[0,0,1] op_sel_hi:[1,0,0]
	v_mov_b32_e32 v220, v218
	v_mov_b32_e32 v221, v217
	v_pk_add_f32 v[208:209], v[220:221], v[208:209]
	v_pk_mul_f32 v[220:221], v[120:121], s[46:47] op_sel_hi:[1,0]
	s_mov_b32 s47, s34
	v_pk_fma_f32 v[222:223], v[110:111], s[34:35], v[220:221] op_sel:[0,0,1] op_sel_hi:[1,0,0] neg_lo:[0,0,1] neg_hi:[0,0,1]
	v_pk_fma_f32 v[220:221], v[110:111], s[34:35], v[220:221] op_sel:[0,0,1] op_sel_hi:[1,0,0]
	v_mov_b32_e32 v224, v222
	v_mov_b32_e32 v225, v221
	v_pk_add_f32 v[208:209], v[224:225], v[208:209]
	v_pk_mul_f32 v[224:225], v[122:123], s[36:37]
	s_mov_b32 s35, s46
	v_pk_fma_f32 v[226:227], v[2:3], s[24:25], v[224:225] neg_lo:[1,0,0] neg_hi:[1,0,0]
	v_pk_fma_f32 v[228:229], v[2:3], s[24:25], v[224:225]
	v_pk_mul_f32 v[230:231], v[118:119], s[34:35]
	v_mov_b32_e32 v227, v229
	v_pk_fma_f32 v[232:233], v[116:117], s[46:47], v[230:231] op_sel:[1,0,0] op_sel_hi:[0,1,1] neg_lo:[1,0,0] neg_hi:[1,0,0]
	v_pk_fma_f32 v[234:235], v[30:31], s[46:47], v[230:231]
	v_pk_add_f32 v[226:227], v[0:1], v[226:227]
	v_mov_b32_e32 v233, v235
	v_pk_add_f32 v[226:227], v[232:233], v[226:227]
	v_pk_mul_f32 v[232:233], v[126:127], s[14:15] op_sel_hi:[1,0]
	v_mov_b32_e32 v201, v211
	v_pk_fma_f32 v[236:237], v[124:125], s[30:31], v[232:233] op_sel:[0,0,1] op_sel_hi:[1,0,0] neg_lo:[0,0,1] neg_hi:[0,0,1]
	v_pk_fma_f32 v[232:233], v[124:125], s[30:31], v[232:233] op_sel:[0,0,1] op_sel_hi:[1,0,0]
	v_mov_b32_e32 v238, v236
	v_mov_b32_e32 v239, v233
	v_pk_add_f32 v[226:227], v[238:239], v[226:227]
	v_pk_mul_f32 v[238:239], v[44:45], s[54:55] op_sel_hi:[1,0]
	v_mov_b32_e32 v233, v237
	v_pk_fma_f32 v[240:241], v[40:41], s[42:43], v[238:239] op_sel:[0,0,1] op_sel_hi:[1,0,0] neg_lo:[0,0,1] neg_hi:[0,0,1]
	v_pk_fma_f32 v[238:239], v[40:41], s[42:43], v[238:239] op_sel:[0,0,1] op_sel_hi:[1,0,0]
	v_mov_b32_e32 v242, v240
	;; [unrolled: 7-line block ×6, first 2 shown]
	v_mov_b32_e32 v5, v255
	v_pk_add_f32 v[4:5], v[4:5], v[226:227]
	ds_write2_b64 v204, v[208:209], v[4:5] offset0:6 offset1:7
	v_pk_mul_f32 v[4:5], v[44:45], s[52:53] op_sel_hi:[1,0]
	v_mov_b32_e32 v255, v7
	v_pk_fma_f32 v[44:45], v[40:41], s[26:27], v[4:5] op_sel:[0,0,1] op_sel_hi:[1,0,0] neg_lo:[0,0,1] neg_hi:[0,0,1]
	v_pk_fma_f32 v[4:5], v[40:41], s[26:27], v[4:5] op_sel:[0,0,1] op_sel_hi:[1,0,0]
	v_pk_mul_f32 v[40:41], v[50:51], s[18:19] op_sel_hi:[1,0]
	s_mov_b32 s26, s3
	v_pk_fma_f32 v[50:51], v[46:47], s[42:43], v[40:41] op_sel:[0,0,1] op_sel_hi:[1,0,0] neg_lo:[0,0,1] neg_hi:[0,0,1]
	v_pk_fma_f32 v[40:41], v[46:47], s[42:43], v[40:41] op_sel:[0,0,1] op_sel_hi:[1,0,0]
	v_pk_mul_f32 v[46:47], v[56:57], s[46:47] op_sel_hi:[1,0]
	s_mov_b32 s27, s48
	v_pk_fma_f32 v[56:57], v[52:53], s[34:35], v[46:47] op_sel:[0,0,1] op_sel_hi:[1,0,0] neg_lo:[0,0,1] neg_hi:[0,0,1]
	v_pk_fma_f32 v[46:47], v[52:53], s[34:35], v[46:47] op_sel:[0,0,1] op_sel_hi:[1,0,0]
	v_pk_mul_f32 v[52:53], v[114:115], s[22:23] op_sel_hi:[1,0]
	v_pk_mul_f32 v[118:119], v[118:119], s[26:27]
	v_pk_fma_f32 v[114:115], v[112:113], s[38:39], v[52:53] op_sel:[0,0,1] op_sel_hi:[1,0,0] neg_lo:[0,0,1] neg_hi:[0,0,1]
	v_pk_fma_f32 v[52:53], v[112:113], s[38:39], v[52:53] op_sel:[0,0,1] op_sel_hi:[1,0,0]
	v_pk_mul_f32 v[112:113], v[120:121], s[56:57] op_sel_hi:[1,0]
	v_pk_fma_f32 v[116:117], v[116:117], s[48:49], v[118:119] op_sel:[1,0,0] op_sel_hi:[0,1,1] neg_lo:[1,0,0] neg_hi:[1,0,0]
	v_pk_fma_f32 v[120:121], v[110:111], s[30:31], v[112:113] op_sel:[0,0,1] op_sel_hi:[1,0,0] neg_lo:[0,0,1] neg_hi:[0,0,1]
	v_pk_fma_f32 v[110:111], v[110:111], s[30:31], v[112:113] op_sel:[0,0,1] op_sel_hi:[1,0,0]
	v_pk_mul_f32 v[112:113], v[122:123], s[44:45]
	v_pk_fma_f32 v[226:227], v[30:31], s[48:49], v[118:119]
	v_pk_fma_f32 v[122:123], v[2:3], s[20:21], v[112:113] neg_lo:[1,0,0] neg_hi:[1,0,0]
	v_pk_fma_f32 v[208:209], v[2:3], s[20:21], v[112:113]
	v_mov_b32_e32 v117, v227
	v_mov_b32_e32 v123, v209
	v_pk_add_f32 v[122:123], v[0:1], v[122:123]
	v_pk_fma_f32 v[6:7], v[2:3], s[18:19], v[188:189] neg_lo:[0,0,1] neg_hi:[0,0,1]
	v_pk_add_f32 v[116:117], v[116:117], v[122:123]
	v_pk_mul_f32 v[122:123], v[126:127], s[24:25] op_sel_hi:[1,0]
	v_mov_b32_e32 v187, v7
	v_pk_fma_f32 v[126:127], v[124:125], s[36:37], v[122:123] op_sel:[0,0,1] op_sel_hi:[1,0,0] neg_lo:[0,0,1] neg_hi:[0,0,1]
	v_pk_fma_f32 v[122:123], v[124:125], s[36:37], v[122:123] op_sel:[0,0,1] op_sel_hi:[1,0,0]
	v_mov_b32_e32 v124, v126
	v_mov_b32_e32 v125, v123
	v_pk_add_f32 v[116:117], v[124:125], v[116:117]
	v_mov_b32_e32 v124, v44
	v_mov_b32_e32 v125, v5
	;; [unrolled: 1-line block ×3, first 2 shown]
	v_pk_fma_f32 v[44:45], v[2:3], s[20:21], v[112:113] neg_lo:[0,0,1] neg_hi:[0,0,1]
	v_mov_b32_e32 v123, v127
	v_mov_b32_e32 v209, v45
	v_pk_fma_f32 v[44:45], v[30:31], s[48:49], v[118:119] neg_lo:[0,0,1] neg_hi:[0,0,1]
	v_pk_add_f32 v[116:117], v[124:125], v[116:117]
	v_mov_b32_e32 v227, v45
	v_pk_add_f32 v[44:45], v[0:1], v[208:209]
	v_mov_b32_e32 v124, v50
	;; [unrolled: 2-line block ×4, first 2 shown]
	v_pk_add_f32 v[4:5], v[4:5], v[44:45]
	v_pk_add_f32 v[116:117], v[124:125], v[116:117]
	v_mov_b32_e32 v124, v56
	v_mov_b32_e32 v125, v47
	v_mov_b32_e32 v47, v57
	v_pk_add_f32 v[4:5], v[40:41], v[4:5]
	v_pk_add_f32 v[116:117], v[124:125], v[116:117]
	v_mov_b32_e32 v124, v114
	v_mov_b32_e32 v125, v53
	v_mov_b32_e32 v53, v115
	;; [unrolled: 5-line block ×3, first 2 shown]
	v_pk_add_f32 v[4:5], v[52:53], v[4:5]
	v_pk_add_f32 v[116:117], v[124:125], v[116:117]
	;; [unrolled: 1-line block ×3, first 2 shown]
	ds_write2_b64 v204, v[116:117], v[4:5] offset0:8 offset1:9
	v_pk_fma_f32 v[4:5], v[2:3], s[24:25], v[224:225] neg_lo:[0,0,1] neg_hi:[0,0,1]
	v_pk_fma_f32 v[6:7], v[30:31], s[40:41], v[192:193] neg_lo:[0,0,1] neg_hi:[0,0,1]
	v_mov_b32_e32 v229, v5
	v_pk_fma_f32 v[4:5], v[30:31], s[46:47], v[230:231] neg_lo:[0,0,1] neg_hi:[0,0,1]
	v_mov_b32_e32 v191, v7
	v_mov_b32_e32 v235, v5
	v_pk_add_f32 v[4:5], v[0:1], v[228:229]
	v_pk_add_f32 v[6:7], v[0:1], v[186:187]
	;; [unrolled: 1-line block ×10, first 2 shown]
	v_mov_b32_e32 v251, v253
	v_pk_add_f32 v[4:5], v[246:247], v[4:5]
	v_mov_b32_e32 v217, v219
	v_pk_add_f32 v[6:7], v[212:213], v[6:7]
	v_pk_add_f32 v[4:5], v[250:251], v[4:5]
	v_mov_b32_e32 v221, v223
	v_pk_add_f32 v[6:7], v[216:217], v[6:7]
	v_pk_add_f32 v[4:5], v[254:255], v[4:5]
	;; [unrolled: 1-line block ×3, first 2 shown]
	ds_write2_b64 v204, v[4:5], v[6:7] offset0:10 offset1:11
	v_pk_fma_f32 v[4:5], v[2:3], s[22:23], v[160:161] neg_lo:[0,0,1] neg_hi:[0,0,1]
	v_pk_fma_f32 v[6:7], v[2:3], s[14:15], v[70:71] neg_lo:[0,0,1] neg_hi:[0,0,1]
	v_mov_b32_e32 v159, v5
	v_pk_fma_f32 v[4:5], v[30:31], s[28:29], v[164:165] neg_lo:[0,0,1] neg_hi:[0,0,1]
	v_mov_b32_e32 v69, v7
	;; [unrolled: 2-line block ×3, first 2 shown]
	v_pk_add_f32 v[4:5], v[0:1], v[158:159]
	v_mov_b32_e32 v73, v7
	v_pk_add_f32 v[6:7], v[0:1], v[68:69]
	v_pk_add_f32 v[4:5], v[162:163], v[4:5]
	;; [unrolled: 1-line block ×3, first 2 shown]
	v_mov_b32_e32 v81, v79
	v_mov_b32_e32 v171, v179
	v_pk_add_f32 v[4:5], v[168:169], v[4:5]
	v_mov_b32_e32 v85, v93
	v_pk_add_f32 v[6:7], v[80:81], v[6:7]
	;; [unrolled: 2-line block ×10, first 2 shown]
	v_pk_add_f32 v[4:5], v[180:181], v[4:5]
	v_pk_add_f32 v[6:7], v[94:95], v[6:7]
	ds_write2_b64 v204, v[4:5], v[6:7] offset0:12 offset1:13
	v_pk_fma_f32 v[4:5], v[2:3], s[2:3], v[60:61] neg_lo:[0,0,1] neg_hi:[0,0,1]
	v_mov_b32_e32 v14, v16
	v_mov_b32_e32 v9, v5
	v_pk_add_f32 v[4:5], v[0:1], v[8:9]
	v_mov_b32_e32 v16, v18
	v_pk_add_f32 v[4:5], v[10:11], v[4:5]
	;; [unrolled: 2-line block ×4, first 2 shown]
	v_accvgpr_read_b32 v22, a38
	v_pk_add_f32 v[4:5], v[16:17], v[4:5]
	v_mov_b32_e32 v139, v137
	v_pk_add_f32 v[4:5], v[18:19], v[4:5]
	v_mov_b32_e32 v39, v35
	;; [unrolled: 2-line block ×3, first 2 shown]
	v_pk_add_f32 v[40:41], v[22:23], v[4:5]
	v_pk_fma_f32 v[4:5], v[2:3], s[16:17], v[130:131] neg_lo:[0,0,1] neg_hi:[0,0,1]
	v_pk_fma_f32 v[2:3], v[2:3], s[12:13], v[28:29] neg_lo:[0,0,1] neg_hi:[0,0,1]
	v_mov_b32_e32 v129, v5
	v_pk_fma_f32 v[4:5], v[30:31], s[18:19], v[134:135] neg_lo:[0,0,1] neg_hi:[0,0,1]
	v_mov_b32_e32 v27, v3
	;; [unrolled: 2-line block ×3, first 2 shown]
	v_pk_add_f32 v[4:5], v[0:1], v[128:129]
	v_mov_b32_e32 v33, v3
	v_pk_add_f32 v[0:1], v[0:1], v[26:27]
	v_pk_add_f32 v[4:5], v[132:133], v[4:5]
	v_pk_add_f32 v[0:1], v[32:33], v[0:1]
	v_pk_add_f32 v[4:5], v[138:139], v[4:5]
	v_mov_b32_e32 v43, v37
	v_pk_add_f32 v[0:1], v[38:39], v[0:1]
	v_mov_b32_e32 v143, v149
	v_pk_add_f32 v[4:5], v[140:141], v[4:5]
	;; [unrolled: 2-line block ×9, first 2 shown]
	v_pk_add_f32 v[4:5], v[146:147], v[4:5]
	v_pk_add_f32 v[0:1], v[102:103], v[0:1]
	ds_write2_b64 v204, v[4:5], v[0:1] offset0:14 offset1:15
	v_add_u32_e32 v0, 0x1400, v205
	ds_write_b64 v204, v[40:41] offset:128
	s_waitcnt lgkmcnt(0)
	s_barrier
	ds_read2_b64 v[24:27], v205 offset1:68
	ds_read2_b64 v[28:31], v203 offset0:66 offset1:134
	ds_read2_b64 v[16:19], v205 offset0:136 offset1:204
	;; [unrolled: 1-line block ×6, first 2 shown]
	v_add_u32_e32 v4, 0x1c00, v205
	s_load_dwordx2 s[2:3], s[0:1], 0x38
	ds_read2_b64 v[4:7], v4 offset0:90 offset1:158
	v_accvgpr_read_b32 v33, a11
	v_accvgpr_read_b32 v32, a10
	v_accvgpr_write_b32 a38, v204
	v_cmp_gt_u16_e64 s[0:1], 34, v32
                                        ; implicit-def: $vgpr32
                                        ; implicit-def: $vgpr34
	s_and_saveexec_b64 s[12:13], s[0:1]
	s_cbranch_execz .LBB0_3
; %bb.2:
	ds_read_b64 v[32:33], v205 offset:8976
	ds_read_b64 v[40:41], v205 offset:4352
	s_waitcnt lgkmcnt(0)
	v_mov_b32_e32 v34, v33
.LBB0_3:
	s_or_b64 exec, exec, s[12:13]
	v_accvgpr_read_b32 v57, a11
	s_mov_b64 s[12:13], 0x220
	v_accvgpr_read_b32 v56, a10
	v_lshl_add_u64 v[44:45], v[56:57], 0, s[12:13]
	s_movk_i32 s12, 0xf1
	v_mul_lo_u16_sdwa v33, v56, s12 dst_sel:DWORD dst_unused:UNUSED_PAD src0_sel:BYTE_0 src1_sel:DWORD
	s_mov_b32 s14, 0xf0f1
	v_lshrrev_b16_e32 v33, 12, v33
	v_mul_u32_u24_sdwa v38, v44, s14 dst_sel:DWORD dst_unused:UNUSED_PAD src0_sel:WORD_0 src1_sel:DWORD
	v_mul_lo_u16_e32 v35, 17, v33
	v_lshrrev_b32_e32 v42, 20, v38
	v_sub_u16_e32 v35, v56, v35
	v_mov_b32_e32 v36, 3
	v_mul_lo_u16_e32 v38, 17, v42
	v_lshlrev_b32_sdwa v37, v36, v35 dst_sel:DWORD dst_unused:UNUSED_PAD src0_sel:DWORD src1_sel:BYTE_0
	v_sub_u16_e32 v43, v44, v38
	v_lshlrev_b32_e32 v38, 3, v43
	global_load_dwordx2 v[62:63], v37, s[10:11]
	global_load_dwordx2 v[58:59], v38, s[10:11]
	v_add_u16_e32 v37, 0x44, v56
	v_accvgpr_write_b32 a67, v45
	v_mul_lo_u16_sdwa v38, v37, s12 dst_sel:DWORD dst_unused:UNUSED_PAD src0_sel:BYTE_0 src1_sel:DWORD
	v_accvgpr_write_b32 a66, v44
	v_lshrrev_b16_e32 v44, 12, v38
	v_mul_lo_u16_e32 v38, 17, v44
	v_sub_u16_e32 v45, v37, v38
	v_lshlrev_b32_sdwa v37, v36, v45 dst_sel:DWORD dst_unused:UNUSED_PAD src0_sel:DWORD src1_sel:BYTE_0
	global_load_dwordx2 v[64:65], v37, s[10:11]
	v_add_u16_e32 v37, 0x88, v56
	v_mul_lo_u16_sdwa v38, v37, s12 dst_sel:DWORD dst_unused:UNUSED_PAD src0_sel:BYTE_0 src1_sel:DWORD
	v_lshrrev_b16_e32 v46, 12, v38
	v_mul_lo_u16_e32 v38, 17, v46
	v_sub_u16_e32 v47, v37, v38
	v_lshlrev_b32_sdwa v36, v36, v47 dst_sel:DWORD dst_unused:UNUSED_PAD src0_sel:DWORD src1_sel:BYTE_0
	s_mov_b64 s[12:13], 0xcc
	global_load_dwordx2 v[66:67], v36, s[10:11]
	v_lshl_add_u64 v[36:37], v[56:57], 0, s[12:13]
	v_mul_u32_u24_sdwa v37, v36, s14 dst_sel:DWORD dst_unused:UNUSED_PAD src0_sel:WORD_0 src1_sel:DWORD
	v_lshrrev_b32_e32 v48, 20, v37
	v_mul_lo_u16_e32 v37, 17, v48
	v_sub_u16_e32 v49, v36, v37
	v_lshlrev_b32_e32 v36, 3, v49
	s_mov_b64 s[12:13], 0x110
	global_load_dwordx2 v[68:69], v36, s[10:11]
	v_lshl_add_u64 v[36:37], v[56:57], 0, s[12:13]
	v_mul_u32_u24_sdwa v37, v36, s14 dst_sel:DWORD dst_unused:UNUSED_PAD src0_sel:WORD_0 src1_sel:DWORD
	v_lshrrev_b32_e32 v50, 20, v37
	v_mul_lo_u16_e32 v37, 17, v50
	v_sub_u16_e32 v51, v36, v37
	v_lshlrev_b32_e32 v36, 3, v51
	;; [unrolled: 8-line block ×5, first 2 shown]
	global_load_dwordx2 v[76:77], v36, s[10:11]
	v_mad_legacy_u16 v33, v33, 34, v35
	v_and_b32_e32 v33, 0xff, v33
	v_accvgpr_read_b32 v60, a19
	v_lshl_add_u32 v61, v33, 3, v60
	s_waitcnt lgkmcnt(0)
	s_barrier
	v_accvgpr_write_b32 a39, v61
	s_waitcnt vmcnt(8)
	v_pk_mul_f32 v[36:37], v[28:29], v[62:63] op_sel:[0,1]
	s_nop 0
	v_pk_fma_f32 v[38:39], v[28:29], v[62:63], v[36:37] op_sel:[0,0,1] op_sel_hi:[1,1,0] neg_lo:[0,0,1] neg_hi:[0,0,1]
	v_pk_fma_f32 v[28:29], v[28:29], v[62:63], v[36:37] op_sel:[0,0,1] op_sel_hi:[1,0,0]
	s_waitcnt vmcnt(7)
	v_pk_mul_f32 v[34:35], v[34:35], v[58:59] op_sel_hi:[0,1]
	v_mov_b32_e32 v39, v29
	v_pk_add_f32 v[28:29], v[24:25], v[38:39] neg_lo:[0,1] neg_hi:[0,1]
	v_pk_fma_f32 v[36:37], v[32:33], v[58:59], v[34:35] op_sel:[0,0,1] op_sel_hi:[1,1,0] neg_lo:[0,0,1] neg_hi:[0,0,1]
	v_pk_fma_f32 v[24:25], v[24:25], 2.0, v[28:29] op_sel_hi:[1,0,1] neg_lo:[0,0,1] neg_hi:[0,0,1]
	ds_write2_b64 v61, v[24:25], v[28:29] offset1:17
	v_mul_u32_u24_e32 v24, 34, v44
	v_pk_fma_f32 v[32:33], v[32:33], v[58:59], v[34:35] op_sel:[0,0,1] op_sel_hi:[0,1,0]
	v_add_u32_sdwa v24, v24, v45 dst_sel:DWORD dst_unused:UNUSED_PAD src0_sel:DWORD src1_sel:BYTE_0
	v_lshl_add_u32 v32, v24, 3, v60
	s_waitcnt vmcnt(6)
	v_pk_mul_f32 v[24:25], v[30:31], v[64:65] op_sel:[0,1]
	v_accvgpr_write_b32 a42, v62
	v_pk_fma_f32 v[28:29], v[30:31], v[64:65], v[24:25] op_sel:[0,0,1] op_sel_hi:[1,1,0] neg_lo:[0,0,1] neg_hi:[0,0,1]
	v_pk_fma_f32 v[24:25], v[30:31], v[64:65], v[24:25] op_sel:[0,0,1] op_sel_hi:[1,0,0]
	v_accvgpr_write_b32 a40, v58
	v_mov_b32_e32 v29, v25
	v_pk_add_f32 v[24:25], v[26:27], v[28:29] neg_lo:[0,1] neg_hi:[0,1]
	v_mov_b32_e32 v37, v33
	v_pk_fma_f32 v[26:27], v[26:27], 2.0, v[24:25] op_sel_hi:[1,0,1] neg_lo:[0,0,1] neg_hi:[0,0,1]
	ds_write2_b64 v32, v[26:27], v[24:25] offset1:17
	v_mul_u32_u24_e32 v24, 34, v46
	v_add_u32_sdwa v24, v24, v47 dst_sel:DWORD dst_unused:UNUSED_PAD src0_sel:DWORD src1_sel:BYTE_0
	v_lshl_add_u32 v28, v24, 3, v60
	s_waitcnt vmcnt(5)
	v_pk_mul_f32 v[24:25], v[20:21], v[66:67] op_sel:[0,1]
	v_accvgpr_write_b32 a44, v64
	v_pk_fma_f32 v[26:27], v[20:21], v[66:67], v[24:25] op_sel:[0,0,1] op_sel_hi:[1,1,0] neg_lo:[0,0,1] neg_hi:[0,0,1]
	v_pk_fma_f32 v[20:21], v[20:21], v[66:67], v[24:25] op_sel:[0,0,1] op_sel_hi:[1,0,0]
	v_accvgpr_write_b32 a46, v66
	v_mov_b32_e32 v27, v21
	v_pk_add_f32 v[20:21], v[16:17], v[26:27] neg_lo:[0,1] neg_hi:[0,1]
	s_waitcnt vmcnt(4)
	v_accvgpr_write_b32 a48, v68
	v_pk_fma_f32 v[16:17], v[16:17], 2.0, v[20:21] op_sel_hi:[1,0,1] neg_lo:[0,0,1] neg_hi:[0,0,1]
	ds_write2_b64 v28, v[16:17], v[20:21] offset1:17
	v_mad_legacy_u16 v16, v48, 34, v49
	v_lshl_add_u32 v24, v16, 3, v60
	v_pk_mul_f32 v[16:17], v[22:23], v[68:69] op_sel:[0,1]
	s_waitcnt vmcnt(3)
	v_accvgpr_write_b32 a50, v70
	v_pk_fma_f32 v[20:21], v[22:23], v[68:69], v[16:17] op_sel:[0,0,1] op_sel_hi:[1,1,0] neg_lo:[0,0,1] neg_hi:[0,0,1]
	v_pk_fma_f32 v[16:17], v[22:23], v[68:69], v[16:17] op_sel:[0,0,1] op_sel_hi:[1,0,0]
	s_waitcnt vmcnt(2)
	v_accvgpr_write_b32 a52, v72
	v_mov_b32_e32 v21, v17
	v_pk_add_f32 v[16:17], v[18:19], v[20:21] neg_lo:[0,1] neg_hi:[0,1]
	v_accvgpr_write_b32 a43, v63
	v_pk_fma_f32 v[18:19], v[18:19], 2.0, v[16:17] op_sel_hi:[1,0,1] neg_lo:[0,0,1] neg_hi:[0,0,1]
	ds_write2_b64 v24, v[18:19], v[16:17] offset1:17
	v_mad_legacy_u16 v16, v50, 34, v51
	v_lshl_add_u32 v20, v16, 3, v60
	v_pk_mul_f32 v[16:17], v[12:13], v[70:71] op_sel:[0,1]
	s_waitcnt vmcnt(1)
	v_accvgpr_write_b32 a54, v74
	v_pk_fma_f32 v[18:19], v[12:13], v[70:71], v[16:17] op_sel:[0,0,1] op_sel_hi:[1,1,0] neg_lo:[0,0,1] neg_hi:[0,0,1]
	v_pk_fma_f32 v[12:13], v[12:13], v[70:71], v[16:17] op_sel:[0,0,1] op_sel_hi:[1,0,0]
	v_accvgpr_write_b32 a41, v59
	v_mov_b32_e32 v19, v13
	v_pk_add_f32 v[12:13], v[8:9], v[18:19] neg_lo:[0,1] neg_hi:[0,1]
	s_waitcnt vmcnt(0)
	v_accvgpr_write_b32 a56, v76
	v_pk_fma_f32 v[8:9], v[8:9], 2.0, v[12:13] op_sel_hi:[1,0,1] neg_lo:[0,0,1] neg_hi:[0,0,1]
	ds_write2_b64 v20, v[8:9], v[12:13] offset1:17
	v_mad_legacy_u16 v8, v52, 34, v53
	v_lshl_add_u32 v16, v8, 3, v60
	v_pk_mul_f32 v[8:9], v[14:15], v[72:73] op_sel:[0,1]
	v_pk_add_f32 v[138:139], v[40:41], v[36:37] neg_lo:[0,1] neg_hi:[0,1]
	v_pk_fma_f32 v[12:13], v[14:15], v[72:73], v[8:9] op_sel:[0,0,1] op_sel_hi:[1,1,0] neg_lo:[0,0,1] neg_hi:[0,0,1]
	v_pk_fma_f32 v[8:9], v[14:15], v[72:73], v[8:9] op_sel:[0,0,1] op_sel_hi:[1,0,0]
	v_accvgpr_write_b32 a45, v65
	v_mov_b32_e32 v13, v9
	v_pk_add_f32 v[8:9], v[10:11], v[12:13] neg_lo:[0,1] neg_hi:[0,1]
	v_accvgpr_write_b32 a58, v32
	v_pk_fma_f32 v[10:11], v[10:11], 2.0, v[8:9] op_sel_hi:[1,0,1] neg_lo:[0,0,1] neg_hi:[0,0,1]
	ds_write2_b64 v16, v[10:11], v[8:9] offset1:17
	v_mad_legacy_u16 v8, v54, 34, v55
	v_lshl_add_u32 v12, v8, 3, v60
	v_pk_mul_f32 v[8:9], v[4:5], v[74:75] op_sel:[0,1]
	v_accvgpr_write_b32 a47, v67
	v_pk_fma_f32 v[10:11], v[4:5], v[74:75], v[8:9] op_sel:[0,0,1] op_sel_hi:[1,1,0] neg_lo:[0,0,1] neg_hi:[0,0,1]
	v_pk_fma_f32 v[4:5], v[4:5], v[74:75], v[8:9] op_sel:[0,0,1] op_sel_hi:[1,0,0]
	v_accvgpr_write_b32 a59, v28
	v_mov_b32_e32 v11, v5
	v_pk_add_f32 v[4:5], v[0:1], v[10:11] neg_lo:[0,1] neg_hi:[0,1]
	v_accvgpr_write_b32 a49, v69
	v_pk_fma_f32 v[0:1], v[0:1], 2.0, v[4:5] op_sel_hi:[1,0,1] neg_lo:[0,0,1] neg_hi:[0,0,1]
	ds_write2_b64 v12, v[0:1], v[4:5] offset1:17
	v_mad_legacy_u16 v0, v56, 34, v57
	v_lshl_add_u32 v8, v0, 3, v60
	v_pk_mul_f32 v[0:1], v[6:7], v[76:77] op_sel:[0,1]
	v_accvgpr_write_b32 a60, v24
	v_pk_fma_f32 v[4:5], v[6:7], v[76:77], v[0:1] op_sel:[0,0,1] op_sel_hi:[1,1,0] neg_lo:[0,0,1] neg_hi:[0,0,1]
	v_pk_fma_f32 v[0:1], v[6:7], v[76:77], v[0:1] op_sel:[0,0,1] op_sel_hi:[1,0,0]
	v_accvgpr_write_b32 a51, v71
	v_mov_b32_e32 v5, v1
	v_pk_add_f32 v[0:1], v[2:3], v[4:5] neg_lo:[0,1] neg_hi:[0,1]
	v_accvgpr_write_b32 a61, v20
	v_pk_fma_f32 v[2:3], v[2:3], 2.0, v[0:1] op_sel_hi:[1,0,1] neg_lo:[0,0,1] neg_hi:[0,0,1]
	ds_write2_b64 v8, v[2:3], v[0:1] offset1:17
	v_mad_legacy_u16 v0, v42, 34, v43
	v_accvgpr_write_b32 a53, v73
	v_accvgpr_write_b32 a62, v16
	;; [unrolled: 1-line block ×7, first 2 shown]
	s_and_saveexec_b64 s[12:13], s[0:1]
	s_cbranch_execz .LBB0_5
; %bb.4:
	v_accvgpr_read_b32 v0, a65
	v_lshl_add_u32 v2, v0, 3, v60
	v_pk_fma_f32 v[0:1], v[40:41], 2.0, v[138:139] op_sel_hi:[1,0,1] neg_lo:[0,0,1] neg_hi:[0,0,1]
	ds_write2_b64 v2, v[0:1], v[138:139] offset1:17
.LBB0_5:
	s_or_b64 exec, exec, s[12:13]
	s_movk_i32 s12, 0xffde
	v_accvgpr_read_b32 v95, a11
	s_mov_b32 s13, -1
	v_accvgpr_read_b32 v94, a10
	v_lshl_add_u64 v[220:221], v[94:95], 0, s[12:13]
	v_cndmask_b32_e64 v45, v221, 0, s[0:1]
	v_cndmask_b32_e64 v44, v220, v94, s[0:1]
	v_lshlrev_b64 v[0:1], 7, v[44:45]
	v_add_u32_e32 v204, 0x800, v205
	v_add_u32_e32 v218, 0x1800, v205
	v_lshl_add_u64 v[32:33], s[10:11], 0, v[0:1]
	s_waitcnt lgkmcnt(0)
	s_barrier
	ds_read2_b64 v[40:43], v204 offset0:16 offset1:84
	ds_read2_b64 v[36:39], v218 offset0:48 offset1:116
	global_load_dwordx4 v[8:11], v[32:33], off offset:152
	global_load_dwordx4 v[0:3], v[32:33], off offset:136
	;; [unrolled: 1-line block ×8, first 2 shown]
	ds_read2_b64 v[32:35], v205 offset1:68
	ds_read2_b64 v[46:49], v204 offset0:152 offset1:220
	v_add_u32_e32 v45, 0x1000, v205
	ds_read2_b64 v[50:53], v45 offset0:32 offset1:100
	ds_read2_b64 v[54:57], v45 offset0:168 offset1:236
	;; [unrolled: 1-line block ×3, first 2 shown]
	v_mov_b32_e32 v95, v60
	s_mov_b32 s12, 0xbf763a35
	s_mov_b32 s16, 0xbe8c1d8e
	;; [unrolled: 1-line block ×3, first 2 shown]
	v_accvgpr_write_b32 a68, v45
	s_mov_b32 s34, 0xbf1a4643
	s_mov_b32 s26, 0xbf06c442
	v_cmp_lt_u16_e32 vcc, 33, v94
	v_mov_b32_e32 v45, 0x242
	s_mov_b32 s28, 0xbf59a7d5
	s_mov_b32 s18, 0xbe3c28d5
	v_cndmask_b32_e32 v45, 0, v45, vcc
	s_mov_b32 s30, 0xbf7ba420
	v_add_u32_e32 v44, v44, v45
	v_lshl_add_u32 v219, v44, 3, v95
	s_mov_b32 s20, 0xbf2c7751
	s_mov_b32 s38, 0x3f3d2fb0
	;; [unrolled: 1-line block ×15, first 2 shown]
	s_movk_i32 s33, 0x1000
	s_waitcnt vmcnt(4) lgkmcnt(6)
	v_pk_mul_f32 v[58:59], v[42:43], v[4:5] op_sel:[0,1]
	s_nop 0
	v_pk_fma_f32 v[70:71], v[42:43], v[4:5], v[58:59] op_sel:[0,0,1] op_sel_hi:[1,1,0] neg_lo:[0,0,1] neg_hi:[0,0,1]
	v_pk_fma_f32 v[42:43], v[42:43], v[4:5], v[58:59] op_sel:[0,0,1] op_sel_hi:[1,0,0]
	s_waitcnt vmcnt(2) lgkmcnt(5)
	v_pk_mul_f32 v[94:95], v[38:39], v[16:17] op_sel:[0,1]
	v_mov_b32_e32 v42, v7
	s_waitcnt lgkmcnt(3)
	v_pk_mul_f32 v[58:59], v[46:47], v[42:43] op_sel_hi:[1,0]
	v_mov_b32_e32 v71, v43
	v_pk_fma_f32 v[42:43], v[46:47], v[6:7], v[58:59] op_sel:[0,0,1] op_sel_hi:[1,1,0] neg_lo:[0,0,1] neg_hi:[0,0,1]
	v_pk_fma_f32 v[46:47], v[46:47], v[6:7], v[58:59] op_sel:[0,0,1] op_sel_hi:[1,0,0]
	v_pk_mul_f32 v[58:59], v[48:49], v[20:21] op_sel:[0,1]
	v_mov_b32_e32 v43, v47
	v_pk_fma_f32 v[46:47], v[48:49], v[20:21], v[58:59] op_sel:[0,0,1] op_sel_hi:[1,1,0] neg_lo:[0,0,1] neg_hi:[0,0,1]
	v_pk_fma_f32 v[48:49], v[48:49], v[20:21], v[58:59] op_sel:[0,0,1] op_sel_hi:[1,0,0]
	v_pk_fma_f32 v[96:97], v[38:39], v[16:17], v[94:95] op_sel:[0,0,1] op_sel_hi:[1,1,0] neg_lo:[0,0,1] neg_hi:[0,0,1]
	v_mov_b32_e32 v48, v23
	s_waitcnt lgkmcnt(2)
	v_pk_mul_f32 v[58:59], v[50:51], v[48:49] op_sel_hi:[1,0]
	v_mov_b32_e32 v47, v49
	v_pk_fma_f32 v[48:49], v[50:51], v[22:23], v[58:59] op_sel:[0,0,1] op_sel_hi:[1,1,0] neg_lo:[0,0,1] neg_hi:[0,0,1]
	v_pk_fma_f32 v[50:51], v[50:51], v[22:23], v[58:59] op_sel:[0,0,1] op_sel_hi:[1,0,0]
	s_waitcnt vmcnt(0)
	v_pk_mul_f32 v[58:59], v[52:53], v[28:29] op_sel:[0,1]
	v_mov_b32_e32 v49, v51
	v_pk_fma_f32 v[50:51], v[52:53], v[28:29], v[58:59] op_sel:[0,0,1] op_sel_hi:[1,1,0] neg_lo:[0,0,1] neg_hi:[0,0,1]
	v_pk_fma_f32 v[52:53], v[52:53], v[28:29], v[58:59] op_sel:[0,0,1] op_sel_hi:[1,0,0]
	v_pk_fma_f32 v[38:39], v[38:39], v[16:17], v[94:95] op_sel:[0,0,1] op_sel_hi:[1,0,0]
	v_mov_b32_e32 v52, v31
	s_waitcnt lgkmcnt(1)
	v_pk_mul_f32 v[58:59], v[54:55], v[52:53] op_sel_hi:[1,0]
	v_mov_b32_e32 v51, v53
	v_pk_fma_f32 v[52:53], v[54:55], v[30:31], v[58:59] op_sel:[0,0,1] op_sel_hi:[1,1,0] neg_lo:[0,0,1] neg_hi:[0,0,1]
	v_pk_fma_f32 v[54:55], v[54:55], v[30:31], v[58:59] op_sel:[0,0,1] op_sel_hi:[1,0,0]
	v_pk_mul_f32 v[58:59], v[56:57], v[24:25] op_sel:[0,1]
	v_mov_b32_e32 v53, v55
	v_pk_fma_f32 v[54:55], v[56:57], v[24:25], v[58:59] op_sel:[0,0,1] op_sel_hi:[1,1,0] neg_lo:[0,0,1] neg_hi:[0,0,1]
	v_pk_fma_f32 v[56:57], v[56:57], v[24:25], v[58:59] op_sel:[0,0,1] op_sel_hi:[1,0,0]
	v_pk_add_f32 v[144:145], v[46:47], v[52:53] neg_lo:[0,1] neg_hi:[0,1]
	v_mov_b32_e32 v56, v27
	v_pk_mul_f32 v[58:59], v[36:37], v[56:57] op_sel_hi:[1,0]
	v_mov_b32_e32 v55, v57
	v_pk_fma_f32 v[56:57], v[36:37], v[26:27], v[58:59] op_sel:[0,0,1] op_sel_hi:[1,1,0] neg_lo:[0,0,1] neg_hi:[0,0,1]
	v_pk_fma_f32 v[36:37], v[36:37], v[26:27], v[58:59] op_sel:[0,0,1] op_sel_hi:[1,0,0]
	v_pk_add_f32 v[134:135], v[42:43], v[54:55] neg_lo:[0,1] neg_hi:[0,1]
	v_mov_b32_e32 v57, v37
	v_pk_mul_f32 v[36:37], v[34:35], v[0:1] op_sel:[0,1]
	v_pk_add_f32 v[132:133], v[42:43], v[54:55]
	v_pk_fma_f32 v[62:63], v[34:35], v[0:1], v[36:37] op_sel:[0,0,1] op_sel_hi:[1,1,0] neg_lo:[0,0,1] neg_hi:[0,0,1]
	v_pk_fma_f32 v[34:35], v[34:35], v[0:1], v[36:37] op_sel:[0,0,1] op_sel_hi:[1,0,0]
	v_pk_add_f32 v[36:37], v[70:71], v[56:57] neg_lo:[0,1] neg_hi:[0,1]
	v_mov_b32_e32 v34, v3
	v_mov_b32_e32 v63, v35
	s_waitcnt lgkmcnt(0)
	v_pk_mul_f32 v[34:35], v[66:67], v[34:35] op_sel_hi:[1,0]
	v_pk_add_f32 v[136:137], v[46:47], v[52:53]
	v_pk_fma_f32 v[64:65], v[66:67], v[2:3], v[34:35] op_sel:[0,0,1] op_sel_hi:[1,1,0] neg_lo:[0,0,1] neg_hi:[0,0,1]
	v_pk_fma_f32 v[34:35], v[66:67], v[2:3], v[34:35] op_sel:[0,0,1] op_sel_hi:[1,0,0]
	v_pk_mul_f32 v[66:67], v[36:37], s[12:13] op_sel:[1,0] op_sel_hi:[0,0]
	v_mov_b32_e32 v65, v35
	v_pk_mul_f32 v[34:35], v[68:69], v[8:9] op_sel:[0,1]
	v_pk_add_f32 v[148:149], v[48:49], v[50:51] neg_lo:[0,1] neg_hi:[0,1]
	v_pk_fma_f32 v[60:61], v[68:69], v[8:9], v[34:35] op_sel:[0,0,1] op_sel_hi:[1,1,0] neg_lo:[0,0,1] neg_hi:[0,0,1]
	v_pk_fma_f32 v[34:35], v[68:69], v[8:9], v[34:35] op_sel:[0,0,1] op_sel_hi:[1,0,0]
	v_pk_add_f32 v[146:147], v[48:49], v[50:51]
	v_mov_b32_e32 v34, v11
	v_mov_b32_e32 v61, v35
	v_pk_mul_f32 v[34:35], v[40:41], v[34:35] op_sel_hi:[1,0]
	v_mov_b32_e32 v38, v19
	v_pk_fma_f32 v[58:59], v[40:41], v[10:11], v[34:35] op_sel:[0,0,1] op_sel_hi:[1,1,0] neg_lo:[0,0,1] neg_hi:[0,0,1]
	v_pk_fma_f32 v[34:35], v[40:41], v[10:11], v[34:35] op_sel:[0,0,1] op_sel_hi:[1,0,0]
	v_mov_b32_e32 v97, v39
	v_mov_b32_e32 v59, v35
	v_pk_add_f32 v[34:35], v[32:33], v[62:63]
	v_pk_add_f32 v[182:183], v[58:59], v[96:97] neg_lo:[0,1] neg_hi:[0,1]
	v_pk_add_f32 v[34:35], v[34:35], v[64:65]
	v_pk_add_f32 v[178:179], v[58:59], v[96:97]
	;; [unrolled: 1-line block ×3, first 2 shown]
	s_mov_b32 s13, s16
	v_pk_add_f32 v[34:35], v[34:35], v[58:59]
	s_nop 0
	v_pk_add_f32 v[40:41], v[34:35], v[70:71]
	v_pk_add_f32 v[34:35], v[70:71], v[56:57]
	s_nop 0
	v_pk_fma_f32 v[70:71], v[34:35], s[16:17], v[66:67] op_sel_hi:[1,0,1]
	v_pk_fma_f32 v[72:73], v[34:35], s[16:17], v[66:67] op_sel_hi:[1,0,1] neg_lo:[0,0,1] neg_hi:[0,0,1]
	v_pk_mul_f32 v[66:67], v[134:135], s[14:15] op_sel:[1,0] op_sel_hi:[0,0]
	v_pk_fma_f32 v[76:77], v[132:133], s[34:35], v[66:67] op_sel_hi:[1,0,1]
	v_pk_fma_f32 v[78:79], v[132:133], s[34:35], v[66:67] op_sel_hi:[1,0,1] neg_lo:[0,0,1] neg_hi:[0,0,1]
	v_pk_mul_f32 v[66:67], v[144:145], s[26:27] op_sel:[1,0] op_sel_hi:[0,0]
	;; [unrolled: 3-line block ×3, first 2 shown]
	v_pk_fma_f32 v[88:89], v[146:147], s[30:31], v[66:67] op_sel_hi:[1,0,1]
	v_pk_fma_f32 v[90:91], v[146:147], s[30:31], v[66:67] op_sel_hi:[1,0,1] neg_lo:[0,0,1] neg_hi:[0,0,1]
	ds_read2_b64 v[66:69], v218 offset0:184 offset1:252
	ds_read_b64 v[44:45], v205 offset:8704
	v_mov_b32_e32 v75, v73
	v_mov_b32_e32 v73, v71
	;; [unrolled: 1-line block ×3, first 2 shown]
	s_waitcnt lgkmcnt(1)
	v_pk_mul_f32 v[38:39], v[66:67], v[38:39] op_sel_hi:[1,0]
	v_mov_b32_e32 v79, v77
	v_pk_fma_f32 v[94:95], v[66:67], v[18:19], v[38:39] op_sel:[0,0,1] op_sel_hi:[1,1,0] neg_lo:[0,0,1] neg_hi:[0,0,1]
	v_pk_fma_f32 v[38:39], v[66:67], v[18:19], v[38:39] op_sel:[0,0,1] op_sel_hi:[1,0,0]
	v_mov_b32_e32 v87, v85
	v_mov_b32_e32 v95, v39
	v_pk_mul_f32 v[38:39], v[68:69], v[12:13] op_sel:[0,1]
	v_pk_add_f32 v[172:173], v[60:61], v[94:95] neg_lo:[0,1] neg_hi:[0,1]
	v_pk_fma_f32 v[66:67], v[68:69], v[12:13], v[38:39] op_sel:[0,0,1] op_sel_hi:[1,1,0] neg_lo:[0,0,1] neg_hi:[0,0,1]
	v_pk_fma_f32 v[38:39], v[68:69], v[12:13], v[38:39] op_sel:[0,0,1] op_sel_hi:[1,0,0]
	v_pk_add_f32 v[168:169], v[60:61], v[94:95]
	v_mov_b32_e32 v38, v15
	v_mov_b32_e32 v67, v39
	s_waitcnt lgkmcnt(0)
	v_pk_mul_f32 v[38:39], v[44:45], v[38:39] op_sel_hi:[1,0]
	v_pk_add_f32 v[156:157], v[64:65], v[66:67]
	v_pk_fma_f32 v[68:69], v[44:45], v[14:15], v[38:39] op_sel:[0,0,1] op_sel_hi:[1,1,0] neg_lo:[0,0,1] neg_hi:[0,0,1]
	v_pk_fma_f32 v[38:39], v[44:45], v[14:15], v[38:39] op_sel:[0,0,1] op_sel_hi:[1,0,0]
	v_mov_b32_e32 v85, v83
	v_mov_b32_e32 v69, v39
	v_pk_add_f32 v[38:39], v[40:41], v[42:43]
	v_pk_add_f32 v[160:161], v[62:63], v[68:69]
	;; [unrolled: 1-line block ×3, first 2 shown]
	v_pk_add_f32 v[44:45], v[62:63], v[68:69] neg_lo:[0,1] neg_hi:[0,1]
	v_pk_add_f32 v[38:39], v[38:39], v[48:49]
	v_pk_add_f32 v[62:63], v[64:65], v[66:67] neg_lo:[0,1] neg_hi:[0,1]
	v_pk_add_f32 v[38:39], v[38:39], v[50:51]
	v_mov_b32_e32 v166, v63
	v_pk_add_f32 v[38:39], v[38:39], v[52:53]
	v_mov_b32_e32 v74, v70
	v_pk_add_f32 v[38:39], v[38:39], v[54:55]
	v_mov_b32_e32 v93, v91
	v_pk_add_f32 v[38:39], v[38:39], v[56:57]
	v_mov_b32_e32 v91, v89
	v_pk_add_f32 v[38:39], v[38:39], v[96:97]
	v_mov_b32_e32 v80, v76
	v_pk_add_f32 v[38:39], v[38:39], v[94:95]
	v_mov_b32_e32 v86, v82
	v_pk_add_f32 v[38:39], v[38:39], v[66:67]
	s_nop 0
	v_pk_add_f32 v[40:41], v[38:39], v[68:69]
	v_pk_mul_f32 v[38:39], v[62:63], s[20:21] op_sel:[1,0] op_sel_hi:[0,0]
	v_pk_fma_f32 v[42:43], v[156:157], s[38:39], v[38:39] op_sel_hi:[1,0,1]
	v_pk_fma_f32 v[46:47], v[156:157], s[38:39], v[38:39] op_sel_hi:[1,0,1] neg_lo:[0,0,1] neg_hi:[0,0,1]
	v_pk_mul_f32 v[38:39], v[172:173], s[24:25] op_sel:[1,0] op_sel_hi:[0,0]
	v_pk_fma_f32 v[50:51], v[168:169], s[46:47], v[38:39] op_sel_hi:[1,0,1]
	v_pk_fma_f32 v[52:53], v[168:169], s[46:47], v[38:39] op_sel_hi:[1,0,1] neg_lo:[0,0,1] neg_hi:[0,0,1]
	v_pk_mul_f32 v[38:39], v[182:183], s[22:23] op_sel:[1,0] op_sel_hi:[0,0]
	v_pk_fma_f32 v[56:57], v[178:179], s[44:45], v[38:39] op_sel_hi:[1,0,1]
	v_pk_fma_f32 v[58:59], v[178:179], s[44:45], v[38:39] op_sel_hi:[1,0,1] neg_lo:[0,0,1] neg_hi:[0,0,1]
	v_mov_b32_e32 v39, v161
	v_mov_b32_e32 v161, v44
	v_mov_b32_e32 v38, v45
	v_pk_mul_f32 v[44:45], v[160:161], s[36:37]
	v_mov_b32_e32 v48, v42
	v_pk_fma_f32 v[64:65], v[38:39], s[48:49], v[44:45] neg_lo:[1,0,0] neg_hi:[1,0,0]
	v_pk_fma_f32 v[66:67], v[38:39], s[48:49], v[44:45]
	v_pk_fma_f32 v[44:45], v[38:39], s[48:49], v[44:45] neg_lo:[0,0,1] neg_hi:[0,0,1]
	v_mov_b32_e32 v65, v67
	v_mov_b32_e32 v67, v45
	v_mov_b32_e32 v49, v47
	v_pk_add_f32 v[64:65], v[32:33], v[64:65]
	v_pk_add_f32 v[44:45], v[32:33], v[66:67]
	v_mov_b32_e32 v47, v43
	v_mov_b32_e32 v54, v50
	v_mov_b32_e32 v55, v53
	v_pk_add_f32 v[42:43], v[46:47], v[64:65]
	v_pk_add_f32 v[44:45], v[48:49], v[44:45]
	;; [unrolled: 5-line block ×3, first 2 shown]
	v_mov_b32_e32 v59, v57
	s_mov_b32 s39, s20
	v_pk_add_f32 v[42:43], v[58:59], v[42:43]
	v_pk_add_f32 v[44:45], v[60:61], v[44:45]
	s_mov_b32 s21, s38
	v_pk_mul_f32 v[58:59], v[160:161], s[38:39]
	v_mov_b32_e32 v61, v157
	v_mov_b32_e32 v157, v62
	s_mov_b32 s45, s22
	v_pk_fma_f32 v[64:65], v[38:39], s[20:21], v[58:59] neg_lo:[1,0,0] neg_hi:[1,0,0]
	v_pk_fma_f32 v[56:57], v[38:39], s[20:21], v[58:59]
	v_mov_b32_e32 v60, v63
	s_mov_b32 s23, s44
	v_pk_mul_f32 v[122:123], v[156:157], s[44:45]
	v_mov_b32_e32 v65, v57
	v_pk_fma_f32 v[66:67], v[166:167], s[22:23], v[122:123] neg_lo:[1,0,0] neg_hi:[1,0,0]
	v_pk_fma_f32 v[62:63], v[60:61], s[22:23], v[122:123]
	v_pk_add_f32 v[64:65], v[32:33], v[64:65]
	v_mov_b32_e32 v67, v63
	v_pk_add_f32 v[42:43], v[72:73], v[42:43]
	v_pk_add_f32 v[64:65], v[66:67], v[64:65]
	v_pk_mul_f32 v[66:67], v[172:173], s[14:15] op_sel:[1,0] op_sel_hi:[0,0]
	v_pk_add_f32 v[42:43], v[78:79], v[42:43]
	v_pk_fma_f32 v[68:69], v[168:169], s[34:35], v[66:67] op_sel_hi:[1,0,1] neg_lo:[0,0,1] neg_hi:[0,0,1]
	v_pk_fma_f32 v[126:127], v[168:169], s[34:35], v[66:67] op_sel_hi:[1,0,1]
	v_pk_add_f32 v[42:43], v[84:85], v[42:43]
	v_mov_b32_e32 v66, v68
	v_mov_b32_e32 v67, v127
	v_pk_add_f32 v[44:45], v[74:75], v[44:45]
	v_pk_add_f32 v[42:43], v[90:91], v[42:43]
	s_mov_b32 s36, 0x3f06c442
	v_pk_add_f32 v[64:65], v[66:67], v[64:65]
	v_pk_mul_f32 v[66:67], v[182:183], s[18:19] op_sel:[1,0] op_sel_hi:[0,0]
	s_barrier
	v_pk_add_f32 v[44:45], v[80:81], v[44:45]
	ds_write2_b64 v219, v[40:41], v[42:43] offset1:34
	v_pk_mul_f32 v[40:41], v[36:37], s[36:37] op_sel:[1,0] op_sel_hi:[0,0]
	v_accvgpr_write_b32 a75, v69
	v_pk_fma_f32 v[68:69], v[178:179], s[30:31], v[66:67] op_sel_hi:[1,0,1] neg_lo:[0,0,1] neg_hi:[0,0,1]
	v_pk_fma_f32 v[130:131], v[178:179], s[30:31], v[66:67] op_sel_hi:[1,0,1]
	v_mov_b32_e32 v92, v88
	v_pk_add_f32 v[44:45], v[86:87], v[44:45]
	v_pk_fma_f32 v[48:49], v[34:35], s[28:29], v[40:41] op_sel_hi:[1,0,1] neg_lo:[0,0,1] neg_hi:[0,0,1]
	v_pk_fma_f32 v[40:41], v[34:35], s[28:29], v[40:41] op_sel_hi:[1,0,1]
	v_pk_mul_f32 v[42:43], v[134:135], s[40:41] op_sel:[1,0] op_sel_hi:[0,0]
	v_mov_b32_e32 v66, v68
	v_mov_b32_e32 v67, v131
	v_pk_add_f32 v[142:143], v[92:93], v[44:45]
	v_accvgpr_write_b32 a11, v49
	v_mov_b32_e32 v49, v41
	v_pk_fma_f32 v[50:51], v[132:133], s[16:17], v[42:43] op_sel_hi:[1,0,1] neg_lo:[0,0,1] neg_hi:[0,0,1]
	v_pk_fma_f32 v[42:43], v[132:133], s[16:17], v[42:43] op_sel_hi:[1,0,1]
	v_pk_mul_f32 v[44:45], v[144:145], s[42:43] op_sel:[1,0] op_sel_hi:[0,0]
	v_pk_add_f32 v[64:65], v[66:67], v[64:65]
	v_accvgpr_write_b32 a69, v51
	v_mov_b32_e32 v51, v43
	v_pk_fma_f32 v[52:53], v[136:137], s[46:47], v[44:45] op_sel_hi:[1,0,1] neg_lo:[0,0,1] neg_hi:[0,0,1]
	v_pk_fma_f32 v[44:45], v[136:137], s[46:47], v[44:45] op_sel_hi:[1,0,1]
	v_pk_add_f32 v[48:49], v[48:49], v[64:65]
	s_mov_b32 s47, s24
	v_accvgpr_write_b32 a71, v53
	v_mov_b32_e32 v53, v45
	v_pk_add_f32 v[48:49], v[50:51], v[48:49]
	v_pk_mul_f32 v[50:51], v[36:37], s[52:53] op_sel:[1,0] op_sel_hi:[0,0]
	s_mov_b32 s25, s46
	v_pk_mul_f32 v[180:181], v[160:161], s[46:47]
	s_mov_b32 s35, s14
	v_pk_add_f32 v[48:49], v[52:53], v[48:49]
	v_pk_fma_f32 v[52:53], v[34:35], s[38:39], v[50:51] op_sel_hi:[1,0,1] neg_lo:[0,0,1] neg_hi:[0,0,1]
	v_pk_mul_f32 v[64:65], v[134:135], s[48:49] op_sel:[1,0] op_sel_hi:[0,0]
	v_pk_fma_f32 v[70:71], v[38:39], s[24:25], v[180:181] neg_lo:[1,0,0] neg_hi:[1,0,0]
	v_pk_fma_f32 v[176:177], v[38:39], s[24:25], v[180:181]
	s_mov_b32 s15, s34
	v_pk_mul_f32 v[186:187], v[156:157], s[34:35]
	v_pk_fma_f32 v[150:151], v[34:35], s[38:39], v[50:51] op_sel_hi:[1,0,1]
	v_mov_b32_e32 v50, v52
	v_mov_b32_e32 v41, v53
	v_pk_fma_f32 v[52:53], v[132:133], s[56:57], v[64:65] op_sel_hi:[1,0,1] neg_lo:[0,0,1] neg_hi:[0,0,1]
	v_pk_mul_f32 v[66:67], v[144:145], s[22:23] op_sel:[1,0] op_sel_hi:[0,0]
	v_mov_b32_e32 v71, v177
	v_pk_fma_f32 v[72:73], v[166:167], s[14:15], v[186:187] neg_lo:[1,0,0] neg_hi:[1,0,0]
	v_pk_fma_f32 v[184:185], v[60:61], s[14:15], v[186:187]
	v_pk_mul_f32 v[46:47], v[148:149], s[50:51] op_sel:[1,0] op_sel_hi:[0,0]
	v_accvgpr_write_b32 a77, v69
	v_pk_fma_f32 v[152:153], v[132:133], s[56:57], v[64:65] op_sel_hi:[1,0,1]
	v_mov_b32_e32 v64, v52
	v_mov_b32_e32 v43, v53
	v_pk_fma_f32 v[52:53], v[136:137], s[44:45], v[66:67] op_sel_hi:[1,0,1] neg_lo:[0,0,1] neg_hi:[0,0,1]
	v_pk_mul_f32 v[68:69], v[148:149], s[26:27] op_sel:[1,0] op_sel_hi:[0,0]
	v_mov_b32_e32 v73, v185
	v_pk_add_f32 v[70:71], v[32:33], v[70:71]
	v_pk_fma_f32 v[54:55], v[146:147], s[56:57], v[46:47] op_sel_hi:[1,0,1] neg_lo:[0,0,1] neg_hi:[0,0,1]
	v_pk_fma_f32 v[46:47], v[146:147], s[56:57], v[46:47] op_sel_hi:[1,0,1]
	v_pk_fma_f32 v[154:155], v[136:137], s[44:45], v[66:67] op_sel_hi:[1,0,1]
	v_mov_b32_e32 v66, v52
	v_mov_b32_e32 v45, v53
	v_pk_fma_f32 v[52:53], v[146:147], s[28:29], v[68:69] op_sel_hi:[1,0,1] neg_lo:[0,0,1] neg_hi:[0,0,1]
	v_pk_add_f32 v[70:71], v[72:73], v[70:71]
	v_pk_mul_f32 v[72:73], v[172:173], s[54:55] op_sel:[1,0] op_sel_hi:[0,0]
	v_accvgpr_write_b32 a73, v55
	v_mov_b32_e32 v55, v47
	v_pk_fma_f32 v[158:159], v[146:147], s[28:29], v[68:69] op_sel_hi:[1,0,1]
	v_mov_b32_e32 v68, v52
	v_mov_b32_e32 v47, v53
	v_pk_fma_f32 v[52:53], v[168:169], s[30:31], v[72:73] op_sel_hi:[1,0,1] neg_lo:[0,0,1] neg_hi:[0,0,1]
	v_pk_fma_f32 v[190:191], v[168:169], s[30:31], v[72:73] op_sel_hi:[1,0,1]
	v_mov_b32_e32 v72, v52
	v_mov_b32_e32 v73, v191
	v_pk_add_f32 v[70:71], v[72:73], v[70:71]
	v_pk_mul_f32 v[72:73], v[182:183], s[40:41] op_sel:[1,0] op_sel_hi:[0,0]
	v_mov_b32_e32 v57, v53
	v_pk_fma_f32 v[52:53], v[178:179], s[16:17], v[72:73] op_sel_hi:[1,0,1] neg_lo:[0,0,1] neg_hi:[0,0,1]
	v_pk_fma_f32 v[194:195], v[178:179], s[16:17], v[72:73] op_sel_hi:[1,0,1]
	v_mov_b32_e32 v72, v52
	v_mov_b32_e32 v73, v195
	;; [unrolled: 1-line block ×3, first 2 shown]
	v_pk_add_f32 v[70:71], v[72:73], v[70:71]
	v_mov_b32_e32 v65, v153
	v_pk_add_f32 v[50:51], v[50:51], v[70:71]
	v_mov_b32_e32 v67, v155
	;; [unrolled: 2-line block ×3, first 2 shown]
	v_pk_add_f32 v[50:51], v[66:67], v[50:51]
	v_pk_add_f32 v[48:49], v[54:55], v[48:49]
	;; [unrolled: 1-line block ×3, first 2 shown]
	ds_write2_b64 v219, v[48:49], v[50:51] offset0:68 offset1:102
	v_pk_mul_f32 v[48:49], v[36:37], s[24:25] op_sel:[1,0] op_sel_hi:[0,0]
	v_pk_fma_f32 v[50:51], v[34:35], s[46:47], v[48:49] op_sel_hi:[1,0,1] neg_lo:[0,0,1] neg_hi:[0,0,1]
	v_pk_mul_f32 v[64:65], v[134:135], s[26:27] op_sel:[1,0] op_sel_hi:[0,0]
	v_pk_fma_f32 v[196:197], v[34:35], s[46:47], v[48:49] op_sel_hi:[1,0,1]
	v_mov_b32_e32 v48, v50
	v_mov_b32_e32 v127, v51
	v_pk_fma_f32 v[50:51], v[132:133], s[28:29], v[64:65] op_sel_hi:[1,0,1] neg_lo:[0,0,1] neg_hi:[0,0,1]
	v_pk_mul_f32 v[214:215], v[160:161], s[44:45]
	s_mov_b32 s31, s18
	v_pk_fma_f32 v[198:199], v[132:133], s[28:29], v[64:65] op_sel_hi:[1,0,1]
	v_mov_b32_e32 v64, v50
	v_mov_b32_e32 v131, v51
	v_pk_fma_f32 v[70:71], v[38:39], s[22:23], v[214:215] neg_lo:[1,0,0] neg_hi:[1,0,0]
	v_pk_fma_f32 v[210:211], v[38:39], s[22:23], v[214:215]
	s_mov_b32 s19, s30
	v_pk_mul_f32 v[50:51], v[156:157], s[30:31]
	v_mov_b32_e32 v71, v211
	v_pk_fma_f32 v[72:73], v[166:167], s[18:19], v[50:51] neg_lo:[1,0,0] neg_hi:[1,0,0]
	v_pk_fma_f32 v[216:217], v[60:61], s[18:19], v[50:51]
	v_pk_add_f32 v[70:71], v[32:33], v[70:71]
	v_mov_b32_e32 v73, v217
	v_pk_add_f32 v[70:71], v[72:73], v[70:71]
	v_pk_mul_f32 v[72:73], v[172:173], s[40:41] op_sel:[1,0] op_sel_hi:[0,0]
	v_mov_b32_e32 v63, v53
	v_pk_fma_f32 v[52:53], v[168:169], s[16:17], v[72:73] op_sel_hi:[1,0,1] neg_lo:[0,0,1] neg_hi:[0,0,1]
	v_pk_fma_f32 v[222:223], v[168:169], s[16:17], v[72:73] op_sel_hi:[1,0,1]
	v_mov_b32_e32 v72, v52
	v_mov_b32_e32 v73, v223
	v_pk_add_f32 v[70:71], v[72:73], v[70:71]
	v_pk_mul_f32 v[72:73], v[182:183], s[50:51] op_sel:[1,0] op_sel_hi:[0,0]
	v_pk_fma_f32 v[224:225], v[178:179], s[56:57], v[72:73] op_sel_hi:[1,0,1] neg_lo:[0,0,1] neg_hi:[0,0,1]
	v_pk_fma_f32 v[226:227], v[178:179], s[56:57], v[72:73] op_sel_hi:[1,0,1]
	v_mov_b32_e32 v72, v224
	v_mov_b32_e32 v73, v227
	v_mov_b32_e32 v49, v197
	v_pk_add_f32 v[70:71], v[72:73], v[70:71]
	v_mov_b32_e32 v65, v199
	v_pk_add_f32 v[48:49], v[48:49], v[70:71]
	s_mov_b32 s54, 0x3f7ee86f
	v_pk_add_f32 v[48:49], v[64:65], v[48:49]
	v_pk_mul_f32 v[64:65], v[36:37], s[18:19] op_sel:[1,0] op_sel_hi:[0,0]
	v_pk_fma_f32 v[236:237], v[34:35], s[30:31], v[64:65] op_sel_hi:[1,0,1] neg_lo:[0,0,1] neg_hi:[0,0,1]
	v_pk_fma_f32 v[228:229], v[34:35], s[30:31], v[64:65] op_sel_hi:[1,0,1]
	v_pk_mul_f32 v[64:65], v[134:135], s[54:55] op_sel:[1,0] op_sel_hi:[0,0]
	v_pk_mul_f32 v[66:67], v[144:145], s[58:59] op_sel:[1,0] op_sel_hi:[0,0]
	v_pk_fma_f32 v[238:239], v[132:133], s[44:45], v[64:65] op_sel_hi:[1,0,1] neg_lo:[0,0,1] neg_hi:[0,0,1]
	v_pk_fma_f32 v[230:231], v[132:133], s[44:45], v[64:65] op_sel_hi:[1,0,1]
	v_pk_mul_f32 v[64:65], v[144:145], s[48:49] op_sel:[1,0] op_sel_hi:[0,0]
	s_mov_b32 s17, s12
	v_pk_fma_f32 v[208:209], v[136:137], s[34:35], v[66:67] op_sel_hi:[1,0,1] neg_lo:[0,0,1] neg_hi:[0,0,1]
	v_pk_fma_f32 v[200:201], v[136:137], s[34:35], v[66:67] op_sel_hi:[1,0,1]
	v_pk_fma_f32 v[240:241], v[136:137], s[56:57], v[64:65] op_sel_hi:[1,0,1] neg_lo:[0,0,1] neg_hi:[0,0,1]
	v_pk_fma_f32 v[232:233], v[136:137], s[56:57], v[64:65] op_sel_hi:[1,0,1]
	v_pk_mul_f32 v[64:65], v[148:149], s[14:15] op_sel:[1,0] op_sel_hi:[0,0]
	v_pk_mul_f32 v[246:247], v[160:161], s[16:17]
	s_mov_b32 s29, s36
	v_mov_b32_e32 v66, v208
	v_mov_b32_e32 v67, v201
	v_pk_fma_f32 v[242:243], v[146:147], s[34:35], v[64:65] op_sel_hi:[1,0,1] neg_lo:[0,0,1] neg_hi:[0,0,1]
	v_pk_fma_f32 v[234:235], v[146:147], s[34:35], v[64:65] op_sel_hi:[1,0,1]
	v_pk_fma_f32 v[64:65], v[38:39], s[12:13], v[246:247] neg_lo:[1,0,0] neg_hi:[1,0,0]
	v_pk_fma_f32 v[244:245], v[38:39], s[12:13], v[246:247]
	s_mov_b32 s37, s28
	v_pk_mul_f32 v[250:251], v[156:157], s[28:29]
	v_pk_add_f32 v[48:49], v[66:67], v[48:49]
	v_mov_b32_e32 v65, v245
	v_pk_fma_f32 v[66:67], v[166:167], s[36:37], v[250:251] neg_lo:[1,0,0] neg_hi:[1,0,0]
	v_pk_fma_f32 v[248:249], v[60:61], s[36:37], v[250:251]
	v_pk_add_f32 v[64:65], v[32:33], v[64:65]
	v_mov_b32_e32 v67, v249
	v_pk_add_f32 v[64:65], v[66:67], v[64:65]
	v_pk_mul_f32 v[66:67], v[172:173], s[52:53] op_sel:[1,0] op_sel_hi:[0,0]
	v_pk_fma_f32 v[252:253], v[168:169], s[38:39], v[66:67] op_sel_hi:[1,0,1] neg_lo:[0,0,1] neg_hi:[0,0,1]
	v_pk_fma_f32 v[254:255], v[168:169], s[38:39], v[66:67] op_sel_hi:[1,0,1]
	v_mov_b32_e32 v66, v252
	v_mov_b32_e32 v67, v255
	v_pk_mul_f32 v[68:69], v[148:149], s[52:53] op_sel:[1,0] op_sel_hi:[0,0]
	v_pk_add_f32 v[76:77], v[66:67], v[64:65]
	v_pk_mul_f32 v[64:65], v[182:183], s[24:25] op_sel:[1,0] op_sel_hi:[0,0]
	v_pk_fma_f32 v[54:55], v[146:147], s[38:39], v[68:69] op_sel_hi:[1,0,1] neg_lo:[0,0,1] neg_hi:[0,0,1]
	v_pk_fma_f32 v[202:203], v[146:147], s[38:39], v[68:69] op_sel_hi:[1,0,1]
	v_pk_fma_f32 v[66:67], v[178:179], s[46:47], v[64:65] op_sel_hi:[1,0,1] neg_lo:[0,0,1] neg_hi:[0,0,1]
	v_pk_fma_f32 v[64:65], v[178:179], s[46:47], v[64:65] op_sel_hi:[1,0,1]
	v_mov_b32_e32 v68, v54
	v_mov_b32_e32 v69, v203
	;; [unrolled: 1-line block ×4, first 2 shown]
	v_pk_add_f32 v[48:49], v[68:69], v[48:49]
	v_mov_b32_e32 v68, v236
	v_mov_b32_e32 v69, v229
	v_pk_add_f32 v[76:77], v[78:79], v[76:77]
	v_mov_b32_e32 v70, v238
	v_mov_b32_e32 v71, v231
	;; [unrolled: 3-line block ×4, first 2 shown]
	v_pk_add_f32 v[68:69], v[72:73], v[68:69]
	v_pk_mul_f32 v[90:91], v[160:161], s[34:35]
	v_pk_add_f32 v[68:69], v[74:75], v[68:69]
	ds_write2_b64 v219, v[48:49], v[68:69] offset0:136 offset1:170
	v_pk_mul_f32 v[48:49], v[36:37], s[54:55] op_sel:[1,0] op_sel_hi:[0,0]
	v_pk_fma_f32 v[78:79], v[34:35], s[44:45], v[48:49] op_sel_hi:[1,0,1] neg_lo:[0,0,1] neg_hi:[0,0,1]
	v_pk_fma_f32 v[68:69], v[34:35], s[44:45], v[48:49] op_sel_hi:[1,0,1]
	v_pk_mul_f32 v[48:49], v[134:135], s[20:21] op_sel:[1,0] op_sel_hi:[0,0]
	v_pk_fma_f32 v[80:81], v[132:133], s[38:39], v[48:49] op_sel_hi:[1,0,1] neg_lo:[0,0,1] neg_hi:[0,0,1]
	v_pk_fma_f32 v[70:71], v[132:133], s[38:39], v[48:49] op_sel_hi:[1,0,1]
	;; [unrolled: 3-line block ×3, first 2 shown]
	v_pk_mul_f32 v[48:49], v[148:149], s[42:43] op_sel:[1,0] op_sel_hi:[0,0]
	s_mov_b32 s17, s40
	v_pk_fma_f32 v[86:87], v[146:147], s[46:47], v[48:49] op_sel_hi:[1,0,1] neg_lo:[0,0,1] neg_hi:[0,0,1]
	v_pk_fma_f32 v[76:77], v[146:147], s[46:47], v[48:49] op_sel_hi:[1,0,1]
	v_pk_fma_f32 v[48:49], v[38:39], s[14:15], v[90:91] neg_lo:[1,0,0] neg_hi:[1,0,0]
	v_pk_fma_f32 v[88:89], v[38:39], s[14:15], v[90:91]
	s_mov_b32 s41, s16
	v_pk_mul_f32 v[94:95], v[156:157], s[16:17]
	v_mov_b32_e32 v49, v89
	v_pk_fma_f32 v[96:97], v[166:167], s[40:41], v[94:95] neg_lo:[1,0,0] neg_hi:[1,0,0]
	v_pk_fma_f32 v[92:93], v[60:61], s[40:41], v[94:95]
	v_pk_add_f32 v[48:49], v[32:33], v[48:49]
	v_mov_b32_e32 v97, v93
	v_pk_add_f32 v[48:49], v[96:97], v[48:49]
	v_pk_mul_f32 v[96:97], v[172:173], s[48:49] op_sel:[1,0] op_sel_hi:[0,0]
	v_pk_fma_f32 v[98:99], v[168:169], s[56:57], v[96:97] op_sel_hi:[1,0,1] neg_lo:[0,0,1] neg_hi:[0,0,1]
	v_pk_fma_f32 v[96:97], v[168:169], s[56:57], v[96:97] op_sel_hi:[1,0,1]
	v_mov_b32_e32 v100, v98
	v_mov_b32_e32 v101, v97
	v_pk_add_f32 v[108:109], v[100:101], v[48:49]
	v_pk_mul_f32 v[100:101], v[182:183], s[26:27] op_sel:[1,0] op_sel_hi:[0,0]
	v_pk_fma_f32 v[48:49], v[178:179], s[28:29], v[100:101] op_sel_hi:[1,0,1] neg_lo:[0,0,1] neg_hi:[0,0,1]
	v_pk_fma_f32 v[100:101], v[178:179], s[28:29], v[100:101] op_sel_hi:[1,0,1]
	v_mov_b32_e32 v110, v48
	v_mov_b32_e32 v111, v101
	;; [unrolled: 1-line block ×4, first 2 shown]
	v_pk_add_f32 v[108:109], v[110:111], v[108:109]
	v_mov_b32_e32 v82, v80
	v_mov_b32_e32 v83, v71
	v_pk_add_f32 v[74:75], v[74:75], v[108:109]
	v_mov_b32_e32 v102, v84
	v_mov_b32_e32 v103, v73
	v_pk_add_f32 v[74:75], v[82:83], v[74:75]
	s_mov_b32 s29, s26
	v_mov_b32_e32 v106, v86
	v_mov_b32_e32 v107, v77
	v_pk_add_f32 v[74:75], v[102:103], v[74:75]
	s_mov_b32 s27, s28
	v_pk_mul_f32 v[108:109], v[160:161], s[28:29]
	s_mov_b32 s47, s42
	v_pk_add_f32 v[104:105], v[106:107], v[74:75]
	v_pk_fma_f32 v[114:115], v[38:39], s[26:27], v[108:109] neg_lo:[1,0,0] neg_hi:[1,0,0]
	v_pk_fma_f32 v[106:107], v[38:39], s[26:27], v[108:109]
	s_mov_b32 s43, s46
	v_pk_mul_f32 v[112:113], v[156:157], s[46:47]
	v_mov_b32_e32 v115, v107
	v_pk_fma_f32 v[116:117], v[166:167], s[42:43], v[112:113] neg_lo:[1,0,0] neg_hi:[1,0,0]
	v_pk_fma_f32 v[110:111], v[60:61], s[42:43], v[112:113]
	v_pk_add_f32 v[114:115], v[32:33], v[114:115]
	v_mov_b32_e32 v117, v111
	v_pk_add_f32 v[118:119], v[116:117], v[114:115]
	v_pk_mul_f32 v[116:117], v[172:173], s[22:23] op_sel:[1,0] op_sel_hi:[0,0]
	v_pk_fma_f32 v[114:115], v[168:169], s[44:45], v[116:117] op_sel_hi:[1,0,1] neg_lo:[0,0,1] neg_hi:[0,0,1]
	v_pk_fma_f32 v[116:117], v[168:169], s[44:45], v[116:117] op_sel_hi:[1,0,1]
	v_mov_b32_e32 v164, v114
	v_mov_b32_e32 v165, v117
	v_pk_add_f32 v[206:207], v[164:165], v[118:119]
	v_pk_mul_f32 v[164:165], v[182:183], s[58:59] op_sel:[1,0] op_sel_hi:[0,0]
	v_pk_mul_f32 v[74:75], v[36:37], s[48:49] op_sel:[1,0] op_sel_hi:[0,0]
	v_pk_fma_f32 v[212:213], v[178:179], s[34:35], v[164:165] op_sel_hi:[1,0,1] neg_lo:[0,0,1] neg_hi:[0,0,1]
	v_pk_fma_f32 v[164:165], v[178:179], s[34:35], v[164:165] op_sel_hi:[1,0,1]
	v_pk_fma_f32 v[170:171], v[34:35], s[56:57], v[74:75] op_sel_hi:[1,0,1] neg_lo:[0,0,1] neg_hi:[0,0,1]
	v_pk_fma_f32 v[82:83], v[34:35], s[56:57], v[74:75] op_sel_hi:[1,0,1]
	v_pk_mul_f32 v[102:103], v[134:135], s[18:19] op_sel:[1,0] op_sel_hi:[0,0]
	v_mov_b32_e32 v118, v212
	v_mov_b32_e32 v119, v165
	v_mov_b32_e32 v120, v170
	v_mov_b32_e32 v121, v83
	v_pk_fma_f32 v[174:175], v[132:133], s[30:31], v[102:103] op_sel_hi:[1,0,1] neg_lo:[0,0,1] neg_hi:[0,0,1]
	v_pk_fma_f32 v[74:75], v[132:133], s[30:31], v[102:103] op_sel_hi:[1,0,1]
	v_pk_mul_f32 v[102:103], v[144:145], s[52:53] op_sel:[1,0] op_sel_hi:[0,0]
	v_pk_add_f32 v[118:119], v[118:119], v[206:207]
	v_mov_b32_e32 v124, v174
	v_mov_b32_e32 v125, v75
	v_pk_fma_f32 v[188:189], v[136:137], s[38:39], v[102:103] op_sel_hi:[1,0,1] neg_lo:[0,0,1] neg_hi:[0,0,1]
	v_pk_fma_f32 v[140:141], v[136:137], s[38:39], v[102:103] op_sel_hi:[1,0,1]
	v_pk_mul_f32 v[102:103], v[148:149], s[12:13] op_sel:[1,0] op_sel_hi:[0,0]
	v_pk_add_f32 v[118:119], v[120:121], v[118:119]
	v_mov_b32_e32 v128, v188
	v_mov_b32_e32 v129, v141
	v_pk_fma_f32 v[192:193], v[146:147], s[16:17], v[102:103] op_sel_hi:[1,0,1] neg_lo:[0,0,1] neg_hi:[0,0,1]
	v_pk_fma_f32 v[162:163], v[146:147], s[16:17], v[102:103] op_sel_hi:[1,0,1]
	v_pk_add_f32 v[118:119], v[124:125], v[118:119]
	v_mov_b32_e32 v102, v192
	v_mov_b32_e32 v103, v163
	v_pk_add_f32 v[118:119], v[128:129], v[118:119]
	v_pk_mul_f32 v[124:125], v[144:145], s[12:13] op_sel:[1,0] op_sel_hi:[0,0]
	v_pk_add_f32 v[102:103], v[102:103], v[118:119]
	ds_write2_b64 v219, v[104:105], v[102:103] offset0:204 offset1:238
	v_pk_mul_f32 v[104:105], v[134:135], s[42:43] op_sel:[1,0] op_sel_hi:[0,0]
	v_pk_mul_f32 v[134:135], v[148:149], s[54:55] op_sel:[1,0] op_sel_hi:[0,0]
	v_pk_fma_f32 v[128:129], v[136:137], s[16:17], v[124:125] op_sel_hi:[1,0,1] neg_lo:[0,0,1] neg_hi:[0,0,1]
	v_pk_fma_f32 v[124:125], v[136:137], s[16:17], v[124:125] op_sel_hi:[1,0,1]
	v_pk_fma_f32 v[136:137], v[146:147], s[44:45], v[134:135] op_sel_hi:[1,0,1] neg_lo:[0,0,1] neg_hi:[0,0,1]
	v_pk_fma_f32 v[134:135], v[146:147], s[44:45], v[134:135] op_sel_hi:[1,0,1]
	v_pk_mul_f32 v[146:147], v[160:161], s[30:31]
	s_mov_b32 s16, s49
	s_mov_b32 s17, s50
	v_pk_fma_f32 v[148:149], v[38:39], s[18:19], v[146:147] neg_lo:[1,0,0] neg_hi:[1,0,0]
	v_pk_fma_f32 v[160:161], v[38:39], s[18:19], v[146:147]
	s_mov_b32 s51, s49
	v_pk_mul_f32 v[156:157], v[156:157], s[16:17]
	v_pk_mul_f32 v[36:37], v[36:37], s[14:15] op_sel:[1,0] op_sel_hi:[0,0]
	v_mov_b32_e32 v149, v161
	v_pk_fma_f32 v[206:207], v[166:167], s[50:51], v[156:157] neg_lo:[1,0,0] neg_hi:[1,0,0]
	v_pk_fma_f32 v[166:167], v[60:61], s[50:51], v[156:157]
	v_pk_fma_f32 v[102:103], v[34:35], s[34:35], v[36:37] op_sel_hi:[1,0,1] neg_lo:[0,0,1] neg_hi:[0,0,1]
	v_pk_fma_f32 v[34:35], v[34:35], s[34:35], v[36:37] op_sel_hi:[1,0,1]
	v_mov_b32_e32 v207, v167
	v_pk_add_f32 v[148:149], v[32:33], v[148:149]
	v_pk_mul_f32 v[172:173], v[172:173], s[26:27] op_sel:[1,0] op_sel_hi:[0,0]
	v_mov_b32_e32 v36, v102
	v_mov_b32_e32 v37, v35
	v_pk_add_f32 v[148:149], v[206:207], v[148:149]
	v_pk_fma_f32 v[206:207], v[168:169], s[28:29], v[172:173] op_sel_hi:[1,0,1] neg_lo:[0,0,1] neg_hi:[0,0,1]
	v_pk_fma_f32 v[168:169], v[168:169], s[28:29], v[172:173] op_sel_hi:[1,0,1]
	v_mov_b32_e32 v35, v103
	v_pk_fma_f32 v[102:103], v[38:39], s[18:19], v[146:147] neg_lo:[0,0,1] neg_hi:[0,0,1]
	v_mov_b32_e32 v172, v206
	v_mov_b32_e32 v173, v169
	;; [unrolled: 1-line block ×3, first 2 shown]
	v_pk_fma_f32 v[102:103], v[60:61], s[50:51], v[156:157] neg_lo:[0,0,1] neg_hi:[0,0,1]
	v_pk_add_f32 v[148:149], v[172:173], v[148:149]
	v_pk_mul_f32 v[172:173], v[182:183], s[52:53] op_sel:[1,0] op_sel_hi:[0,0]
	v_mov_b32_e32 v167, v103
	v_pk_add_f32 v[102:103], v[32:33], v[160:161]
	v_pk_fma_f32 v[182:183], v[178:179], s[38:39], v[172:173] op_sel_hi:[1,0,1] neg_lo:[0,0,1] neg_hi:[0,0,1]
	v_pk_fma_f32 v[172:173], v[178:179], s[38:39], v[172:173] op_sel_hi:[1,0,1]
	v_pk_add_f32 v[102:103], v[166:167], v[102:103]
	v_mov_b32_e32 v169, v207
	v_mov_b32_e32 v178, v182
	;; [unrolled: 1-line block ×3, first 2 shown]
	v_pk_add_f32 v[102:103], v[168:169], v[102:103]
	v_mov_b32_e32 v173, v183
	v_pk_fma_f32 v[118:119], v[132:133], s[46:47], v[104:105] op_sel_hi:[1,0,1] neg_lo:[0,0,1] neg_hi:[0,0,1]
	v_pk_fma_f32 v[104:105], v[132:133], s[46:47], v[104:105] op_sel_hi:[1,0,1]
	v_pk_add_f32 v[148:149], v[178:179], v[148:149]
	v_pk_add_f32 v[102:103], v[172:173], v[102:103]
	v_mov_b32_e32 v120, v118
	v_mov_b32_e32 v121, v105
	v_pk_add_f32 v[36:37], v[36:37], v[148:149]
	v_mov_b32_e32 v105, v119
	v_pk_add_f32 v[34:35], v[34:35], v[102:103]
	v_mov_b32_e32 v132, v128
	v_mov_b32_e32 v133, v125
	v_pk_add_f32 v[36:37], v[120:121], v[36:37]
	v_mov_b32_e32 v125, v129
	;; [unrolled: 5-line block ×3, first 2 shown]
	v_pk_add_f32 v[34:35], v[124:125], v[34:35]
	v_pk_add_f32 v[36:37], v[144:145], v[36:37]
	;; [unrolled: 1-line block ×3, first 2 shown]
	v_add_u32_e32 v48, 0x800, v219
	ds_write2_b64 v48, v[36:37], v[34:35] offset0:16 offset1:50
	v_pk_fma_f32 v[34:35], v[38:39], s[26:27], v[108:109] neg_lo:[0,0,1] neg_hi:[0,0,1]
	v_pk_fma_f32 v[36:37], v[38:39], s[14:15], v[90:91] neg_lo:[0,0,1] neg_hi:[0,0,1]
	v_mov_b32_e32 v107, v35
	v_pk_fma_f32 v[34:35], v[60:61], s[42:43], v[112:113] neg_lo:[0,0,1] neg_hi:[0,0,1]
	v_mov_b32_e32 v89, v37
	;; [unrolled: 2-line block ×3, first 2 shown]
	v_pk_add_f32 v[34:35], v[32:33], v[106:107]
	v_mov_b32_e32 v93, v37
	v_pk_add_f32 v[36:37], v[32:33], v[88:89]
	v_pk_add_f32 v[34:35], v[110:111], v[34:35]
	v_mov_b32_e32 v117, v115
	v_pk_add_f32 v[36:37], v[92:93], v[36:37]
	v_mov_b32_e32 v97, v99
	;; [unrolled: 2-line block ×4, first 2 shown]
	v_mov_b32_e32 v83, v171
	v_pk_add_f32 v[34:35], v[164:165], v[34:35]
	v_mov_b32_e32 v69, v79
	v_pk_add_f32 v[36:37], v[100:101], v[36:37]
	;; [unrolled: 2-line block ×8, first 2 shown]
	v_pk_add_f32 v[34:35], v[162:163], v[34:35]
	v_pk_add_f32 v[36:37], v[76:77], v[36:37]
	ds_write2_b64 v48, v[34:35], v[36:37] offset0:84 offset1:118
	v_pk_fma_f32 v[34:35], v[38:39], s[12:13], v[246:247] neg_lo:[0,0,1] neg_hi:[0,0,1]
	v_pk_fma_f32 v[36:37], v[38:39], s[22:23], v[214:215] neg_lo:[0,0,1] neg_hi:[0,0,1]
	v_mov_b32_e32 v245, v35
	v_pk_fma_f32 v[34:35], v[60:61], s[36:37], v[250:251] neg_lo:[0,0,1] neg_hi:[0,0,1]
	v_mov_b32_e32 v211, v37
	;; [unrolled: 2-line block ×3, first 2 shown]
	v_pk_add_f32 v[34:35], v[32:33], v[244:245]
	v_mov_b32_e32 v217, v37
	v_pk_add_f32 v[36:37], v[32:33], v[210:211]
	v_pk_add_f32 v[34:35], v[248:249], v[34:35]
	v_mov_b32_e32 v255, v253
	v_pk_add_f32 v[36:37], v[216:217], v[36:37]
	v_mov_b32_e32 v223, v53
	;; [unrolled: 2-line block ×4, first 2 shown]
	v_mov_b32_e32 v229, v237
	v_pk_add_f32 v[34:35], v[64:65], v[34:35]
	v_mov_b32_e32 v197, v127
	v_pk_add_f32 v[36:37], v[226:227], v[36:37]
	;; [unrolled: 2-line block ×8, first 2 shown]
	v_pk_add_f32 v[34:35], v[234:235], v[34:35]
	v_pk_add_f32 v[36:37], v[202:203], v[36:37]
	ds_write2_b64 v48, v[34:35], v[36:37] offset0:152 offset1:186
	v_pk_fma_f32 v[34:35], v[38:39], s[24:25], v[180:181] neg_lo:[0,0,1] neg_hi:[0,0,1]
	v_pk_fma_f32 v[36:37], v[38:39], s[20:21], v[58:59] neg_lo:[0,0,1] neg_hi:[0,0,1]
	v_mov_b32_e32 v177, v35
	v_pk_fma_f32 v[34:35], v[60:61], s[14:15], v[186:187] neg_lo:[0,0,1] neg_hi:[0,0,1]
	v_mov_b32_e32 v191, v57
	v_mov_b32_e32 v57, v37
	v_pk_fma_f32 v[36:37], v[60:61], s[22:23], v[122:123] neg_lo:[0,0,1] neg_hi:[0,0,1]
	v_mov_b32_e32 v185, v35
	v_pk_add_f32 v[34:35], v[32:33], v[176:177]
	v_mov_b32_e32 v195, v63
	v_mov_b32_e32 v63, v37
	v_pk_add_f32 v[32:33], v[32:33], v[56:57]
	v_pk_add_f32 v[34:35], v[184:185], v[34:35]
	;; [unrolled: 1-line block ×3, first 2 shown]
	v_accvgpr_read_b32 v127, a75
	v_pk_add_f32 v[34:35], v[190:191], v[34:35]
	v_pk_add_f32 v[32:33], v[126:127], v[32:33]
	v_accvgpr_read_b32 v131, a77
	v_mov_b32_e32 v151, v41
	v_pk_add_f32 v[34:35], v[194:195], v[34:35]
	v_accvgpr_read_b32 v41, a11
	v_pk_add_f32 v[32:33], v[130:131], v[32:33]
	v_mov_b32_e32 v153, v43
	v_pk_add_f32 v[34:35], v[150:151], v[34:35]
	v_accvgpr_read_b32 v43, a69
	v_pk_add_f32 v[32:33], v[40:41], v[32:33]
	;; [unrolled: 4-line block ×4, first 2 shown]
	v_pk_add_f32 v[34:35], v[158:159], v[34:35]
	v_pk_add_f32 v[32:33], v[46:47], v[32:33]
	ds_write2_b64 v48, v[34:35], v[32:33] offset0:220 offset1:254
	v_accvgpr_read_b32 v32, a68
	ds_write_b64 v219, v[142:143] offset:4352
	s_waitcnt lgkmcnt(0)
	s_barrier
	ds_read2_b64 v[40:43], v205 offset1:68
	ds_read2_b64 v[60:63], v32 offset0:66 offset1:134
	ds_read2_b64 v[44:47], v205 offset0:136 offset1:204
	v_add_u32_e32 v32, 0x1400, v205
	ds_read2_b64 v[56:59], v32 offset0:74 offset1:142
	ds_read2_b64 v[48:51], v204 offset0:16 offset1:84
	;; [unrolled: 1-line block ×4, first 2 shown]
	v_add_u32_e32 v66, 0x1c00, v205
	ds_read2_b64 v[36:39], v66 offset0:90 offset1:158
	v_accvgpr_write_b32 a11, v219
	s_and_saveexec_b64 s[12:13], s[0:1]
	s_cbranch_execz .LBB0_7
; %bb.6:
	ds_read_b64 v[142:143], v205 offset:4352
	ds_read_b64 v[138:139], v205 offset:8976
	v_accvgpr_read_b32 v221, a67
	v_accvgpr_read_b32 v220, a66
.LBB0_7:
	s_or_b64 exec, exec, s[12:13]
	v_accvgpr_read_b32 v72, a10
	v_lshlrev_b32_e32 v64, 3, v72
	v_mov_b32_e32 v65, 0
	v_lshl_add_u64 v[68:69], s[10:11], 0, v[64:65]
	v_add_co_u32_e32 v70, vcc, 0x1000, v68
	v_accvgpr_read_b32 v67, a19
	s_nop 0
	v_addc_co_u32_e32 v71, vcc, 0, v69, vcc
	v_add_co_u32_e32 v68, vcc, 0x2000, v68
	global_load_dwordx2 v[98:99], v[70:71], off offset:392
	global_load_dwordx2 v[96:97], v[70:71], off offset:936
	;; [unrolled: 1-line block ×7, first 2 shown]
	v_addc_co_u32_e32 v69, vcc, 0, v69, vcc
	global_load_dwordx2 v[100:101], v[68:69], off offset:104
	v_lshl_add_u64 v[68:69], v[220:221], 3, s[10:11]
	v_add_co_u32_e32 v68, vcc, s33, v68
	v_lshl_add_u32 v67, v72, 3, v67
	s_nop 0
	v_addc_co_u32_e32 v69, vcc, 0, v69, vcc
	global_load_dwordx2 v[86:87], v[68:69], off offset:392
	s_movk_i32 s12, 0x2000
	v_accvgpr_write_b32 a68, v67
	s_waitcnt vmcnt(8) lgkmcnt(6)
	v_pk_mul_f32 v[68:69], v[60:61], v[98:99] op_sel:[0,1]
	s_waitcnt vmcnt(7)
	v_pk_mul_f32 v[70:71], v[62:63], v[96:97] op_sel:[0,1]
	s_waitcnt vmcnt(6) lgkmcnt(4)
	v_pk_mul_f32 v[72:73], v[56:57], v[94:95] op_sel:[0,1]
	s_waitcnt vmcnt(5)
	v_pk_mul_f32 v[74:75], v[58:59], v[92:93] op_sel:[0,1]
	;; [unrolled: 4-line block ×3, first 2 shown]
	s_waitcnt vmcnt(2) lgkmcnt(0)
	v_pk_mul_f32 v[80:81], v[36:37], v[84:85] op_sel:[0,1]
	v_pk_fma_f32 v[82:83], v[60:61], v[98:99], v[68:69] op_sel:[0,0,1] op_sel_hi:[1,1,0] neg_lo:[0,0,1] neg_hi:[0,0,1]
	v_pk_fma_f32 v[60:61], v[60:61], v[98:99], v[68:69] op_sel:[0,0,1] op_sel_hi:[1,0,0]
	v_pk_fma_f32 v[68:69], v[62:63], v[96:97], v[70:71] op_sel:[0,0,1] op_sel_hi:[1,1,0] neg_lo:[0,0,1] neg_hi:[0,0,1]
	v_pk_fma_f32 v[62:63], v[62:63], v[96:97], v[70:71] op_sel:[0,0,1] op_sel_hi:[1,0,0]
	;; [unrolled: 2-line block ×6, first 2 shown]
	v_pk_fma_f32 v[78:79], v[36:37], v[84:85], v[80:81] op_sel:[0,0,1] op_sel_hi:[1,1,0] neg_lo:[0,0,1] neg_hi:[0,0,1]
	v_accvgpr_write_b32 a70, v84
	v_pk_fma_f32 v[36:37], v[36:37], v[84:85], v[80:81] op_sel:[0,0,1] op_sel_hi:[1,0,0]
	s_waitcnt vmcnt(1)
	v_pk_mul_f32 v[80:81], v[38:39], v[100:101] op_sel:[0,1]
	v_accvgpr_write_b32 a71, v85
	s_waitcnt vmcnt(0)
	v_pk_mul_f32 v[84:85], v[138:139], v[86:87] op_sel:[1,0]
	v_mov_b32_e32 v79, v37
	v_pk_fma_f32 v[36:37], v[38:39], v[100:101], v[80:81] op_sel:[0,0,1] op_sel_hi:[1,1,0] neg_lo:[0,0,1] neg_hi:[0,0,1]
	v_pk_fma_f32 v[38:39], v[38:39], v[100:101], v[80:81] op_sel:[0,0,1] op_sel_hi:[1,0,0]
	v_mov_b32_e32 v83, v61
	v_mov_b32_e32 v69, v63
	;; [unrolled: 1-line block ×5, first 2 shown]
	v_pk_fma_f32 v[52:53], v[138:139], v[86:87], v[84:85] op_sel:[0,0,1] op_sel_hi:[1,1,0] neg_lo:[0,0,1] neg_hi:[0,0,1]
	v_pk_fma_f32 v[54:55], v[138:139], v[86:87], v[84:85] op_sel:[0,0,1] op_sel_hi:[0,1,0]
	v_mov_b32_e32 v37, v39
	v_accvgpr_write_b32 a82, v98
	v_accvgpr_write_b32 a80, v96
	;; [unrolled: 1-line block ×6, first 2 shown]
	v_mov_b32_e32 v71, v57
	v_accvgpr_write_b32 a66, v86
	v_pk_add_f32 v[56:57], v[40:41], v[82:83] neg_lo:[0,1] neg_hi:[0,1]
	v_pk_add_f32 v[58:59], v[42:43], v[68:69] neg_lo:[0,1] neg_hi:[0,1]
	;; [unrolled: 1-line block ×4, first 2 shown]
	v_mov_b32_e32 v53, v55
	v_accvgpr_write_b32 a84, v100
	v_pk_add_f32 v[36:37], v[34:35], v[36:37] neg_lo:[0,1] neg_hi:[0,1]
	v_accvgpr_write_b32 a83, v99
	v_accvgpr_write_b32 a81, v97
	;; [unrolled: 1-line block ×7, first 2 shown]
	v_pk_add_f32 v[60:61], v[44:45], v[70:71] neg_lo:[0,1] neg_hi:[0,1]
	v_pk_add_f32 v[68:69], v[48:49], v[74:75] neg_lo:[0,1] neg_hi:[0,1]
	;; [unrolled: 1-line block ×3, first 2 shown]
	v_pk_fma_f32 v[40:41], v[40:41], 2.0, v[56:57] op_sel_hi:[1,0,1] neg_lo:[0,0,1] neg_hi:[0,0,1]
	v_pk_fma_f32 v[42:43], v[42:43], 2.0, v[58:59] op_sel_hi:[1,0,1] neg_lo:[0,0,1] neg_hi:[0,0,1]
	;; [unrolled: 1-line block ×3, first 2 shown]
	v_pk_add_f32 v[222:223], v[142:143], v[52:53] neg_lo:[0,1] neg_hi:[0,1]
	v_accvgpr_write_b32 a85, v101
	v_pk_fma_f32 v[34:35], v[34:35], 2.0, v[36:37] op_sel_hi:[1,0,1] neg_lo:[0,0,1] neg_hi:[0,0,1]
	ds_write_b64 v67, v[56:57] offset:4624
	v_pk_fma_f32 v[44:45], v[44:45], 2.0, v[60:61] op_sel_hi:[1,0,1] neg_lo:[0,0,1] neg_hi:[0,0,1]
	v_pk_fma_f32 v[46:47], v[46:47], 2.0, v[62:63] op_sel_hi:[1,0,1] neg_lo:[0,0,1] neg_hi:[0,0,1]
	;; [unrolled: 1-line block ×4, first 2 shown]
	ds_write2_b64 v205, v[40:41], v[42:43] offset1:68
	ds_write_b64 v67, v[58:59] offset:5168
	ds_write_b64 v205, v[44:45] offset:1088
	;; [unrolled: 1-line block ×9, first 2 shown]
	ds_write2_b64 v204, v[32:33], v[34:35] offset0:152 offset1:220
	ds_write2_b64 v66, v[72:73], v[36:37] offset0:90 offset1:158
	s_and_saveexec_b64 s[10:11], s[0:1]
	s_cbranch_execz .LBB0_9
; %bb.8:
	v_pk_fma_f32 v[32:33], v[142:143], 2.0, v[222:223] op_sel_hi:[1,0,1] neg_lo:[0,0,1] neg_hi:[0,0,1]
	ds_write_b64 v205, v[32:33] offset:4352
	v_accvgpr_read_b32 v32, a68
	ds_write_b64 v32, v[222:223] offset:8976
.LBB0_9:
	s_or_b64 exec, exec, s[10:11]
	v_lshl_add_u64 v[32:33], s[8:9], 0, v[64:65]
	v_add_co_u32_e32 v34, vcc, s12, v32
	s_mov_b64 s[8:9], 0x2420
	s_nop 0
	v_addc_co_u32_e32 v35, vcc, 0, v33, vcc
	s_waitcnt lgkmcnt(0)
	s_barrier
	global_load_dwordx2 v[44:45], v[34:35], off offset:1056
	v_lshl_add_u64 v[34:35], v[32:33], 0, s[8:9]
	global_load_dwordx2 v[56:57], v[34:35], off offset:544
	global_load_dwordx2 v[58:59], v[34:35], off offset:1088
	;; [unrolled: 1-line block ×7, first 2 shown]
	s_movk_i32 s8, 0x3000
	v_add_co_u32_e32 v34, vcc, s8, v32
	s_movk_i32 s8, 0x4000
	s_nop 0
	v_addc_co_u32_e32 v35, vcc, 0, v33, vcc
	global_load_dwordx2 v[70:71], v[34:35], off offset:1312
	global_load_dwordx2 v[72:73], v[34:35], off offset:1856
	;; [unrolled: 1-line block ×6, first 2 shown]
	v_add_co_u32_e32 v48, vcc, s8, v32
	v_add_u32_e32 v204, 0x800, v205
	s_nop 0
	v_addc_co_u32_e32 v49, vcc, 0, v33, vcc
	global_load_dwordx2 v[82:83], v[48:49], off offset:480
	global_load_dwordx2 v[84:85], v[48:49], off offset:1024
	ds_read2_b64 v[32:35], v205 offset1:68
	ds_read2_b64 v[36:39], v205 offset0:136 offset1:204
	global_load_dwordx2 v[86:87], v[48:49], off offset:1568
	ds_read2_b64 v[40:43], v204 offset0:16 offset1:84
	v_add_u32_e32 v46, 0x1000, v205
	ds_read2_b64 v[48:51], v204 offset0:152 offset1:220
	ds_read2_b64 v[52:55], v46 offset0:32 offset1:100
	s_mov_b32 s22, 0xbeb8f4ab
	s_mov_b32 s10, 0x3f6eb680
	;; [unrolled: 1-line block ×25, first 2 shown]
	s_waitcnt vmcnt(15) lgkmcnt(4)
	v_mul_f32_e32 v90, v35, v57
	s_waitcnt vmcnt(14) lgkmcnt(3)
	v_mul_f32_e32 v91, v37, v59
	s_waitcnt vmcnt(13)
	v_mul_f32_e32 v92, v39, v61
	s_waitcnt vmcnt(12) lgkmcnt(2)
	v_mul_f32_e32 v93, v41, v63
	v_mul_f32_e32 v47, v33, v45
	;; [unrolled: 1-line block ×7, first 2 shown]
	s_waitcnt vmcnt(11)
	v_mul_f32_e32 v94, v43, v65
	v_mul_f32_e32 v63, v42, v65
	s_waitcnt vmcnt(10) lgkmcnt(1)
	v_mul_f32_e32 v95, v49, v67
	v_mul_f32_e32 v65, v48, v67
	s_waitcnt vmcnt(9)
	v_mul_f32_e32 v96, v51, v69
	v_mul_f32_e32 v67, v50, v69
	v_fma_f32 v88, v32, v44, -v47
	v_fmac_f32_e32 v89, v33, v44
	v_fma_f32 v44, v34, v56, -v90
	v_fmac_f32_e32 v45, v35, v56
	;; [unrolled: 2-line block ×8, first 2 shown]
	ds_write2_b64 v205, v[88:89], v[44:45] offset1:68
	ds_write2_b64 v205, v[56:57], v[58:59] offset0:136 offset1:204
	ds_write2_b64 v204, v[60:61], v[62:63] offset0:16 offset1:84
	;; [unrolled: 1-line block ×3, first 2 shown]
	ds_read2_b64 v[32:35], v46 offset0:168 offset1:236
	s_waitcnt vmcnt(8) lgkmcnt(5)
	v_mul_f32_e32 v97, v53, v71
	v_mul_f32_e32 v69, v52, v71
	s_waitcnt vmcnt(7)
	v_mul_f32_e32 v36, v55, v73
	v_mul_f32_e32 v37, v54, v73
	v_fma_f32 v68, v52, v70, -v97
	v_fmac_f32_e32 v69, v53, v70
	v_fma_f32 v36, v54, v72, -v36
	v_fmac_f32_e32 v37, v55, v72
	ds_write2_b64 v46, v[68:69], v[36:37] offset0:32 offset1:100
	s_waitcnt vmcnt(6) lgkmcnt(1)
	v_mul_f32_e32 v36, v33, v75
	v_add_u32_e32 v47, 0x1800, v205
	v_fma_f32 v40, v32, v74, -v36
	ds_read2_b64 v[36:39], v47 offset0:48 offset1:116
	v_mul_f32_e32 v41, v32, v75
	v_fmac_f32_e32 v41, v33, v74
	s_waitcnt vmcnt(5)
	v_mul_f32_e32 v32, v35, v77
	v_mul_f32_e32 v33, v34, v77
	v_fma_f32 v32, v34, v76, -v32
	v_fmac_f32_e32 v33, v35, v76
	ds_write2_b64 v46, v[40:41], v[32:33] offset0:168 offset1:236
	s_waitcnt vmcnt(4) lgkmcnt(1)
	v_mul_f32_e32 v32, v37, v79
	v_fma_f32 v40, v36, v78, -v32
	ds_read2_b64 v[32:35], v47 offset0:184 offset1:252
	v_mul_f32_e32 v41, v36, v79
	v_fmac_f32_e32 v41, v37, v78
	s_waitcnt vmcnt(3)
	v_mul_f32_e32 v36, v39, v81
	v_mul_f32_e32 v37, v38, v81
	v_fma_f32 v36, v38, v80, -v36
	v_fmac_f32_e32 v37, v39, v80
	ds_write2_b64 v47, v[40:41], v[36:37] offset0:48 offset1:116
	s_waitcnt vmcnt(2) lgkmcnt(1)
	v_mul_f32_e32 v36, v33, v83
	v_mul_f32_e32 v37, v32, v83
	v_fma_f32 v36, v32, v82, -v36
	v_fmac_f32_e32 v37, v33, v82
	ds_read_b64 v[32:33], v205 offset:8704
	s_waitcnt vmcnt(1)
	v_mul_f32_e32 v38, v35, v85
	v_mul_f32_e32 v39, v34, v85
	v_fma_f32 v38, v34, v84, -v38
	v_fmac_f32_e32 v39, v35, v84
	s_waitcnt vmcnt(0) lgkmcnt(0)
	v_mul_f32_e32 v34, v33, v87
	v_mul_f32_e32 v35, v32, v87
	v_fma_f32 v34, v32, v86, -v34
	v_fmac_f32_e32 v35, v33, v86
	ds_write2_b64 v47, v[36:37], v[38:39] offset0:184 offset1:252
	ds_write_b64 v205, v[34:35] offset:8704
	s_waitcnt lgkmcnt(0)
	s_barrier
	ds_read2_b64 v[32:35], v205 offset1:68
	ds_read2_b64 v[54:57], v204 offset0:152 offset1:220
	ds_read2_b64 v[58:61], v46 offset0:32 offset1:100
	;; [unrolled: 1-line block ×4, first 2 shown]
	ds_read_b64 v[50:51], v205 offset:8704
	ds_read2_b64 v[92:95], v47 offset0:184 offset1:252
	ds_read2_b64 v[36:39], v205 offset0:136 offset1:204
	;; [unrolled: 1-line block ×3, first 2 shown]
	s_waitcnt lgkmcnt(8)
	v_pk_add_f32 v[44:45], v[32:33], v[34:35]
	s_waitcnt lgkmcnt(3)
	v_pk_add_f32 v[152:153], v[34:35], v[50:51] neg_lo:[0,1] neg_hi:[0,1]
	v_pk_add_f32 v[150:151], v[50:51], v[34:35]
	v_pk_mul_f32 v[34:35], v[152:153], s[22:23] op_sel_hi:[1,0]
	v_pk_add_f32 v[186:187], v[64:65], v[54:55]
	v_pk_fma_f32 v[174:175], v[150:151], s[10:11], v[34:35] op_sel:[0,0,1] op_sel_hi:[1,0,0]
	v_pk_fma_f32 v[178:179], v[150:151], s[10:11], v[34:35] op_sel:[0,0,1] op_sel_hi:[1,0,0] neg_lo:[0,0,1] neg_hi:[0,0,1]
	v_mov_b32_e32 v34, v174
	v_mov_b32_e32 v35, v179
	v_pk_add_f32 v[66:67], v[32:33], v[34:35]
	s_waitcnt lgkmcnt(1)
	v_pk_add_f32 v[34:35], v[44:45], v[36:37]
	v_pk_add_f32 v[78:79], v[54:55], v[64:65] neg_lo:[0,1] neg_hi:[0,1]
	v_pk_add_f32 v[34:35], v[34:35], v[38:39]
	v_pk_add_f32 v[166:167], v[94:95], v[36:37]
	s_waitcnt lgkmcnt(0)
	v_pk_add_f32 v[34:35], v[34:35], v[40:41]
	v_pk_add_f32 v[170:171], v[36:37], v[94:95] neg_lo:[0,1] neg_hi:[0,1]
	v_pk_add_f32 v[74:75], v[34:35], v[42:43]
	v_pk_add_f32 v[76:77], v[42:43], v[88:89] neg_lo:[0,1] neg_hi:[0,1]
	v_pk_add_f32 v[54:55], v[74:75], v[54:55]
	v_pk_add_f32 v[80:81], v[62:63], v[56:57]
	;; [unrolled: 1-line block ×3, first 2 shown]
	v_pk_add_f32 v[84:85], v[56:57], v[62:63] neg_lo:[0,1] neg_hi:[0,1]
	v_pk_add_f32 v[54:55], v[54:55], v[58:59]
	v_mov_b32_e32 v56, v166
	v_pk_add_f32 v[54:55], v[54:55], v[60:61]
	v_mov_b32_e32 v57, v170
	v_pk_add_f32 v[54:55], v[54:55], v[62:63]
	v_pk_mul_f32 v[140:141], v[152:153], s[44:45] op_sel_hi:[1,0]
	v_pk_add_f32 v[54:55], v[54:55], v[64:65]
	v_pk_mul_f32 v[34:35], v[170:171], s[30:31] op_sel_hi:[1,0]
	v_pk_add_f32 v[54:55], v[54:55], v[88:89]
	v_pk_add_f32 v[180:181], v[92:93], v[38:39]
	;; [unrolled: 1-line block ×3, first 2 shown]
	v_pk_add_f32 v[68:69], v[38:39], v[92:93] neg_lo:[0,1] neg_hi:[0,1]
	v_pk_add_f32 v[54:55], v[54:55], v[92:93]
	v_pk_add_f32 v[72:73], v[88:89], v[42:43]
	;; [unrolled: 1-line block ×3, first 2 shown]
	v_pk_mul_f32 v[42:43], v[76:77], s[46:47] op_sel_hi:[1,0]
	v_pk_mul_f32 v[52:53], v[84:85], s[28:29] op_sel_hi:[1,0]
	v_pk_add_f32 v[50:51], v[54:55], v[50:51]
	v_mov_b32_e32 v54, v171
	v_mov_b32_e32 v55, v167
	v_pk_mul_f32 v[56:57], v[56:57], s[34:35]
	v_pk_fma_f32 v[156:157], v[150:151], s[38:39], v[140:141] op_sel:[0,0,1] op_sel_hi:[1,0,0]
	v_pk_fma_f32 v[140:141], v[150:151], s[38:39], v[140:141] op_sel:[0,0,1] op_sel_hi:[1,0,0] neg_lo:[0,0,1] neg_hi:[0,0,1]
	v_pk_fma_f32 v[218:219], v[166:167], s[8:9], v[34:35] op_sel:[0,0,1] op_sel_hi:[1,0,0]
	v_pk_fma_f32 v[34:35], v[166:167], s[8:9], v[34:35] op_sel:[0,0,1] op_sel_hi:[1,0,0] neg_lo:[0,0,1] neg_hi:[0,0,1]
	v_pk_mul_f32 v[36:37], v[68:69], s[14:15] op_sel_hi:[1,0]
	v_pk_add_f32 v[70:71], v[90:91], v[40:41]
	v_pk_add_f32 v[184:185], v[40:41], v[90:91] neg_lo:[0,1] neg_hi:[0,1]
	v_pk_fma_f32 v[48:49], v[72:73], s[18:19], v[42:43] op_sel:[0,0,1] op_sel_hi:[1,0,0]
	v_pk_fma_f32 v[102:103], v[80:81], s[26:27], v[52:53] op_sel:[0,0,1] op_sel_hi:[1,0,0]
	v_pk_fma_f32 v[52:53], v[80:81], s[26:27], v[52:53] op_sel:[0,0,1] op_sel_hi:[1,0,0] neg_lo:[0,0,1] neg_hi:[0,0,1]
	v_pk_add_f32 v[86:87], v[60:61], v[58:59]
	v_pk_add_f32 v[188:189], v[58:59], v[60:61] neg_lo:[0,1] neg_hi:[0,1]
	v_pk_fma_f32 v[90:91], v[54:55], s[44:45], v[56:57] neg_lo:[1,0,0] neg_hi:[1,0,0]
	v_pk_fma_f32 v[64:65], v[54:55], s[44:45], v[56:57]
	v_mov_b32_e32 v58, v180
	v_mov_b32_e32 v59, v68
	s_mov_b32 s27, s50
	v_accvgpr_write_b32 a97, v157
	v_mov_b32_e32 v157, v141
	v_pk_fma_f32 v[54:55], v[54:55], s[44:45], v[56:57] neg_lo:[0,0,1] neg_hi:[0,0,1]
	v_mov_b32_e32 v82, v218
	v_mov_b32_e32 v83, v35
	v_pk_fma_f32 v[38:39], v[180:181], s[12:13], v[36:37] op_sel:[0,0,1] op_sel_hi:[1,0,0]
	v_pk_fma_f32 v[36:37], v[180:181], s[12:13], v[36:37] op_sel:[0,0,1] op_sel_hi:[1,0,0] neg_lo:[0,0,1] neg_hi:[0,0,1]
	v_pk_mul_f32 v[40:41], v[184:185], s[24:25] op_sel_hi:[1,0]
	v_pk_fma_f32 v[44:45], v[72:73], s[18:19], v[42:43] op_sel:[0,0,1] op_sel_hi:[1,0,0] neg_lo:[0,0,1] neg_hi:[0,0,1]
	v_mov_b32_e32 v42, v48
	v_accvgpr_write_b32 a89, v49
	v_pk_mul_f32 v[48:49], v[78:79], s[42:43] op_sel_hi:[1,0]
	v_mov_b32_e32 v91, v65
	v_mov_b32_e32 v74, v69
	v_mov_b32_e32 v75, v181
	v_pk_mul_f32 v[88:89], v[58:59], s[26:27]
	v_mov_b32_e32 v58, v70
	v_mov_b32_e32 v59, v184
	s_mov_b32 s9, s30
	s_mov_b32 s34, 0xbf763a35
	v_pk_add_f32 v[156:157], v[32:33], v[156:157]
	v_mov_b32_e32 v65, v55
	v_accvgpr_write_b32 a69, v39
	v_mov_b32_e32 v39, v37
	v_pk_fma_f32 v[96:97], v[70:71], s[20:21], v[40:41] op_sel:[0,0,1] op_sel_hi:[1,0,0]
	v_pk_fma_f32 v[40:41], v[70:71], s[20:21], v[40:41] op_sel:[0,0,1] op_sel_hi:[1,0,0] neg_lo:[0,0,1] neg_hi:[0,0,1]
	v_pk_fma_f32 v[100:101], v[186:187], s[16:17], v[48:49] op_sel:[0,0,1] op_sel_hi:[1,0,0]
	v_pk_fma_f32 v[48:49], v[186:187], s[16:17], v[48:49] op_sel:[0,0,1] op_sel_hi:[1,0,0] neg_lo:[0,0,1] neg_hi:[0,0,1]
	v_pk_fma_f32 v[92:93], v[74:75], s[50:51], v[88:89] neg_lo:[1,0,0] neg_hi:[1,0,0]
	v_pk_fma_f32 v[104:105], v[74:75], s[50:51], v[88:89]
	v_mov_b32_e32 v106, v185
	v_mov_b32_e32 v107, v71
	s_mov_b32 s31, s8
	v_pk_mul_f32 v[108:109], v[58:59], s[8:9]
	v_mov_b32_e32 v58, v72
	v_mov_b32_e32 v59, v76
	s_mov_b32 s17, s34
	v_pk_add_f32 v[54:55], v[64:65], v[66:67]
	v_pk_add_f32 v[56:57], v[82:83], v[156:157]
	v_pk_fma_f32 v[64:65], v[74:75], s[50:51], v[88:89] neg_lo:[0,0,1] neg_hi:[0,0,1]
	v_accvgpr_write_b32 a87, v97
	v_mov_b32_e32 v97, v41
	v_mov_b32_e32 v93, v105
	v_pk_fma_f32 v[94:95], v[106:107], s[30:31], v[108:109] neg_lo:[1,0,0] neg_hi:[1,0,0]
	v_pk_fma_f32 v[110:111], v[106:107], s[30:31], v[108:109]
	v_mov_b32_e32 v112, v77
	v_mov_b32_e32 v113, v73
	s_mov_b32 s35, s16
	v_pk_mul_f32 v[114:115], v[58:59], s[16:17]
	v_mov_b32_e32 v58, v186
	v_mov_b32_e32 v59, v78
	s_mov_b32 s13, s14
	v_mov_b32_e32 v105, v65
	v_pk_add_f32 v[38:39], v[38:39], v[56:57]
	v_pk_fma_f32 v[56:57], v[106:107], s[30:31], v[108:109] neg_lo:[0,0,1] neg_hi:[0,0,1]
	v_mov_b32_e32 v43, v45
	v_mov_b32_e32 v95, v111
	v_pk_fma_f32 v[98:99], v[112:113], s[34:35], v[114:115] neg_lo:[1,0,0] neg_hi:[1,0,0]
	v_pk_fma_f32 v[116:117], v[112:113], s[34:35], v[114:115]
	v_mov_b32_e32 v118, v79
	v_mov_b32_e32 v119, v187
	s_mov_b32 s15, s12
	v_pk_mul_f32 v[120:121], v[58:59], s[12:13]
	v_pk_add_f32 v[54:55], v[104:105], v[54:55]
	v_mov_b32_e32 v111, v57
	v_pk_add_f32 v[38:39], v[96:97], v[38:39]
	v_pk_fma_f32 v[56:57], v[112:113], s[34:35], v[114:115] neg_lo:[0,0,1] neg_hi:[0,0,1]
	v_mov_b32_e32 v99, v117
	v_pk_fma_f32 v[230:231], v[118:119], s[14:15], v[120:121] neg_lo:[1,0,0] neg_hi:[1,0,0]
	v_pk_fma_f32 v[122:123], v[118:119], s[14:15], v[120:121]
	v_mov_b32_e32 v58, v80
	v_mov_b32_e32 v59, v84
	s_mov_b32 s19, s36
	v_pk_add_f32 v[54:55], v[110:111], v[54:55]
	v_mov_b32_e32 v117, v57
	v_pk_add_f32 v[38:39], v[42:43], v[38:39]
	v_pk_fma_f32 v[42:43], v[118:119], s[14:15], v[120:121] neg_lo:[0,0,1] neg_hi:[0,0,1]
	v_mov_b32_e32 v231, v123
	v_mov_b32_e32 v124, v85
	;; [unrolled: 1-line block ×3, first 2 shown]
	v_pk_mul_f32 v[126:127], v[58:59], s[18:19]
	v_mov_b32_e32 v58, v86
	v_mov_b32_e32 v59, v188
	s_mov_b32 s21, s24
	v_pk_add_f32 v[54:55], v[116:117], v[54:55]
	v_mov_b32_e32 v123, v43
	v_pk_fma_f32 v[246:247], v[124:125], s[36:37], v[126:127] neg_lo:[1,0,0] neg_hi:[1,0,0]
	v_pk_fma_f32 v[142:143], v[124:125], s[36:37], v[126:127]
	v_mov_b32_e32 v144, v189
	v_mov_b32_e32 v145, v87
	s_mov_b32 s25, s20
	v_pk_mul_f32 v[146:147], v[58:59], s[20:21]
	v_pk_add_f32 v[42:43], v[122:123], v[54:55]
	v_pk_fma_f32 v[54:55], v[124:125], s[36:37], v[126:127] neg_lo:[0,0,1] neg_hi:[0,0,1]
	v_mov_b32_e32 v247, v143
	v_pk_fma_f32 v[252:253], v[144:145], s[24:25], v[146:147] neg_lo:[1,0,0] neg_hi:[1,0,0]
	v_pk_fma_f32 v[148:149], v[144:145], s[24:25], v[146:147]
	v_mov_b32_e32 v143, v55
	v_pk_fma_f32 v[54:55], v[144:145], s[24:25], v[146:147] neg_lo:[0,0,1] neg_hi:[0,0,1]
	v_mov_b32_e32 v253, v149
	v_pk_add_f32 v[42:43], v[142:143], v[42:43]
	v_mov_b32_e32 v149, v55
	v_pk_add_f32 v[42:43], v[148:149], v[42:43]
	v_accvgpr_read_b32 v218, a38
	s_barrier
	ds_write2_b64 v218, v[50:51], v[42:43] offset1:1
	v_pk_mul_f32 v[42:43], v[152:153], s[50:51] op_sel_hi:[1,0]
	v_accvgpr_write_b32 a91, v101
	v_pk_fma_f32 v[50:51], v[150:151], s[26:27], v[42:43] op_sel:[0,0,1] op_sel_hi:[1,0,0]
	v_pk_fma_f32 v[144:145], v[150:151], s[26:27], v[42:43] op_sel:[0,0,1] op_sel_hi:[1,0,0] neg_lo:[0,0,1] neg_hi:[0,0,1]
	v_mov_b32_e32 v42, v50
	v_mov_b32_e32 v35, v51
	v_pk_mul_f32 v[50:51], v[170:171], s[14:15] op_sel_hi:[1,0]
	v_mov_b32_e32 v101, v49
	v_pk_fma_f32 v[54:55], v[166:167], s[12:13], v[50:51] op_sel:[0,0,1] op_sel_hi:[1,0,0]
	v_pk_fma_f32 v[64:65], v[166:167], s[12:13], v[50:51] op_sel:[0,0,1] op_sel_hi:[1,0,0] neg_lo:[0,0,1] neg_hi:[0,0,1]
	v_mov_b32_e32 v50, v54
	v_mov_b32_e32 v37, v55
	v_pk_mul_f32 v[54:55], v[68:69], s[48:49] op_sel_hi:[1,0]
	v_pk_mul_f32 v[58:59], v[188:189], s[40:41] op_sel_hi:[1,0]
	v_mov_b32_e32 v43, v145
	v_pk_fma_f32 v[56:57], v[180:181], s[20:21], v[54:55] op_sel:[0,0,1] op_sel_hi:[1,0,0]
	v_accvgpr_write_b32 a93, v103
	v_mov_b32_e32 v103, v53
	v_pk_fma_f32 v[154:155], v[86:87], s[10:11], v[58:59] op_sel:[0,0,1] op_sel_hi:[1,0,0]
	v_pk_fma_f32 v[58:59], v[86:87], s[10:11], v[58:59] op_sel:[0,0,1] op_sel_hi:[1,0,0] neg_lo:[0,0,1] neg_hi:[0,0,1]
	v_pk_add_f32 v[38:39], v[100:101], v[38:39]
	v_pk_add_f32 v[42:43], v[32:33], v[42:43]
	v_mov_b32_e32 v51, v65
	v_pk_fma_f32 v[66:67], v[180:181], s[20:21], v[54:55] op_sel:[0,0,1] op_sel_hi:[1,0,0] neg_lo:[0,0,1] neg_hi:[0,0,1]
	v_mov_b32_e32 v54, v56
	v_mov_b32_e32 v41, v57
	v_pk_mul_f32 v[56:57], v[184:185], s[42:43] op_sel_hi:[1,0]
	s_mov_b32 s48, 0x3f2c7751
	v_accvgpr_write_b32 a95, v155
	v_mov_b32_e32 v155, v59
	v_pk_add_f32 v[38:39], v[102:103], v[38:39]
	v_mov_b32_e32 v55, v67
	v_pk_fma_f32 v[74:75], v[70:71], s[16:17], v[56:57] op_sel:[0,0,1] op_sel_hi:[1,0,0]
	v_pk_fma_f32 v[146:147], v[70:71], s[16:17], v[56:57] op_sel:[0,0,1] op_sel_hi:[1,0,0] neg_lo:[0,0,1] neg_hi:[0,0,1]
	v_pk_mul_f32 v[82:83], v[76:77], s[48:49] op_sel_hi:[1,0]
	v_pk_add_f32 v[42:43], v[50:51], v[42:43]
	v_pk_add_f32 v[38:39], v[154:155], v[38:39]
	v_mov_b32_e32 v45, v75
	v_mov_b32_e32 v75, v147
	v_pk_fma_f32 v[56:57], v[72:73], s[38:39], v[82:83] op_sel:[0,0,1] op_sel_hi:[1,0,0]
	v_pk_fma_f32 v[154:155], v[72:73], s[38:39], v[82:83] op_sel:[0,0,1] op_sel_hi:[1,0,0] neg_lo:[0,0,1] neg_hi:[0,0,1]
	v_pk_mul_f32 v[88:89], v[78:79], s[22:23] op_sel_hi:[1,0]
	v_pk_add_f32 v[42:43], v[54:55], v[42:43]
	v_mov_b32_e32 v82, v56
	v_mov_b32_e32 v49, v57
	v_mov_b32_e32 v83, v155
	v_pk_fma_f32 v[56:57], v[186:187], s[10:11], v[88:89] op_sel:[0,0,1] op_sel_hi:[1,0,0]
	v_pk_fma_f32 v[160:161], v[186:187], s[10:11], v[88:89] op_sel:[0,0,1] op_sel_hi:[1,0,0] neg_lo:[0,0,1] neg_hi:[0,0,1]
	v_pk_mul_f32 v[96:97], v[84:85], s[30:31] op_sel_hi:[1,0]
	v_pk_add_f32 v[42:43], v[74:75], v[42:43]
	v_mov_b32_e32 v88, v56
	;; [unrolled: 7-line block ×3, first 2 shown]
	v_mov_b32_e32 v59, v57
	v_mov_b32_e32 v97, v163
	v_pk_fma_f32 v[56:57], v[86:87], s[18:19], v[100:101] op_sel:[0,0,1] op_sel_hi:[1,0,0]
	v_pk_fma_f32 v[172:173], v[86:87], s[18:19], v[100:101] op_sel:[0,0,1] op_sel_hi:[1,0,0] neg_lo:[0,0,1] neg_hi:[0,0,1]
	v_pk_add_f32 v[42:43], v[88:89], v[42:43]
	v_mov_b32_e32 v100, v56
	v_mov_b32_e32 v101, v173
	v_pk_add_f32 v[42:43], v[96:97], v[42:43]
	v_pk_mul_f32 v[50:51], v[68:69], s[42:43] op_sel_hi:[1,0]
	v_pk_add_f32 v[42:43], v[100:101], v[42:43]
	ds_write2_b64 v218, v[38:39], v[42:43] offset0:2 offset1:3
	v_pk_mul_f32 v[38:39], v[152:153], s[30:31] op_sel_hi:[1,0]
	v_pk_fma_f32 v[148:149], v[180:181], s[16:17], v[50:51] op_sel:[0,0,1] op_sel_hi:[1,0,0]
	v_pk_fma_f32 v[42:43], v[150:151], s[8:9], v[38:39] op_sel:[0,0,1] op_sel_hi:[1,0,0]
	v_pk_fma_f32 v[198:199], v[150:151], s[8:9], v[38:39] op_sel:[0,0,1] op_sel_hi:[1,0,0] neg_lo:[0,0,1] neg_hi:[0,0,1]
	v_mov_b32_e32 v38, v42
	v_mov_b32_e32 v65, v43
	v_pk_mul_f32 v[42:43], v[170:171], s[24:25] op_sel_hi:[1,0]
	v_mov_b32_e32 v39, v199
	v_pk_fma_f32 v[156:157], v[166:167], s[20:21], v[42:43] op_sel:[0,0,1] op_sel_hi:[1,0,0]
	v_pk_fma_f32 v[190:191], v[166:167], s[20:21], v[42:43] op_sel:[0,0,1] op_sel_hi:[1,0,0] neg_lo:[0,0,1] neg_hi:[0,0,1]
	v_pk_add_f32 v[38:39], v[32:33], v[38:39]
	v_mov_b32_e32 v42, v156
	v_mov_b32_e32 v43, v191
	v_pk_fma_f32 v[192:193], v[180:181], s[16:17], v[50:51] op_sel:[0,0,1] op_sel_hi:[1,0,0] neg_lo:[0,0,1] neg_hi:[0,0,1]
	v_pk_mul_f32 v[82:83], v[184:185], s[40:41] op_sel_hi:[1,0]
	v_mov_b32_e32 v74, v148
	v_mov_b32_e32 v75, v193
	v_pk_fma_f32 v[142:143], v[70:71], s[10:11], v[82:83] op_sel:[0,0,1] op_sel_hi:[1,0,0]
	v_pk_fma_f32 v[194:195], v[70:71], s[10:11], v[82:83] op_sel:[0,0,1] op_sel_hi:[1,0,0] neg_lo:[0,0,1] neg_hi:[0,0,1]
	v_pk_mul_f32 v[88:89], v[76:77], s[50:51] op_sel_hi:[1,0]
	v_pk_add_f32 v[38:39], v[42:43], v[38:39]
	v_mov_b32_e32 v82, v142
	v_mov_b32_e32 v83, v195
	v_pk_fma_f32 v[62:63], v[72:73], s[26:27], v[88:89] op_sel:[0,0,1] op_sel_hi:[1,0,0]
	v_pk_fma_f32 v[202:203], v[72:73], s[26:27], v[88:89] op_sel:[0,0,1] op_sel_hi:[1,0,0] neg_lo:[0,0,1] neg_hi:[0,0,1]
	v_pk_mul_f32 v[88:89], v[78:79], s[36:37] op_sel_hi:[1,0]
	v_pk_add_f32 v[38:39], v[74:75], v[38:39]
	;; [unrolled: 6-line block ×3, first 2 shown]
	v_pk_mul_f32 v[42:43], v[152:153], s[34:35] op_sel_hi:[1,0]
	v_mov_b32_e32 v141, v57
	v_mov_b32_e32 v100, v60
	;; [unrolled: 1-line block ×3, first 2 shown]
	v_pk_fma_f32 v[56:57], v[80:81], s[12:13], v[88:89] op_sel:[0,0,1] op_sel_hi:[1,0,0]
	v_pk_fma_f32 v[212:213], v[80:81], s[12:13], v[88:89] op_sel:[0,0,1] op_sel_hi:[1,0,0] neg_lo:[0,0,1] neg_hi:[0,0,1]
	v_pk_mul_f32 v[104:105], v[188:189], s[48:49] op_sel_hi:[1,0]
	v_pk_add_f32 v[38:39], v[96:97], v[38:39]
	v_pk_fma_f32 v[54:55], v[150:151], s[16:17], v[42:43] op_sel:[0,0,1] op_sel_hi:[1,0,0]
	v_pk_fma_f32 v[224:225], v[150:151], s[16:17], v[42:43] op_sel:[0,0,1] op_sel_hi:[1,0,0] neg_lo:[0,0,1] neg_hi:[0,0,1]
	v_pk_mul_f32 v[74:75], v[170:171], s[46:47] op_sel_hi:[1,0]
	v_mov_b32_e32 v102, v56
	v_mov_b32_e32 v103, v213
	v_pk_fma_f32 v[88:89], v[86:87], s[38:39], v[104:105] op_sel:[0,0,1] op_sel_hi:[1,0,0]
	v_pk_fma_f32 v[216:217], v[86:87], s[38:39], v[104:105] op_sel:[0,0,1] op_sel_hi:[1,0,0] neg_lo:[0,0,1] neg_hi:[0,0,1]
	v_pk_add_f32 v[38:39], v[100:101], v[38:39]
	v_mov_b32_e32 v42, v54
	v_mov_b32_e32 v43, v225
	v_pk_fma_f32 v[226:227], v[166:167], s[18:19], v[74:75] op_sel:[0,0,1] op_sel_hi:[1,0,0]
	v_pk_fma_f32 v[96:97], v[166:167], s[18:19], v[74:75] op_sel:[0,0,1] op_sel_hi:[1,0,0] neg_lo:[0,0,1] neg_hi:[0,0,1]
	v_pk_mul_f32 v[82:83], v[68:69], s[48:49] op_sel_hi:[1,0]
	v_mov_b32_e32 v104, v88
	v_mov_b32_e32 v105, v217
	v_pk_add_f32 v[38:39], v[102:103], v[38:39]
	v_pk_add_f32 v[42:43], v[32:33], v[42:43]
	v_mov_b32_e32 v74, v226
	v_mov_b32_e32 v75, v97
	v_pk_fma_f32 v[50:51], v[180:181], s[38:39], v[82:83] op_sel:[0,0,1] op_sel_hi:[1,0,0]
	v_pk_fma_f32 v[100:101], v[180:181], s[38:39], v[82:83] op_sel:[0,0,1] op_sel_hi:[1,0,0] neg_lo:[0,0,1] neg_hi:[0,0,1]
	v_pk_mul_f32 v[102:103], v[184:185], s[50:51] op_sel_hi:[1,0]
	v_pk_add_f32 v[38:39], v[104:105], v[38:39]
	v_mov_b32_e32 v82, v50
	v_mov_b32_e32 v83, v101
	v_pk_fma_f32 v[234:235], v[70:71], s[26:27], v[102:103] op_sel:[0,0,1] op_sel_hi:[1,0,0]
	v_pk_fma_f32 v[220:221], v[70:71], s[26:27], v[102:103] op_sel:[0,0,1] op_sel_hi:[1,0,0] neg_lo:[0,0,1] neg_hi:[0,0,1]
	v_pk_mul_f32 v[104:105], v[76:77], s[24:25] op_sel_hi:[1,0]
	s_mov_b32 s46, 0x3f7ee86f
	v_pk_add_f32 v[42:43], v[74:75], v[42:43]
	v_mov_b32_e32 v102, v234
	v_mov_b32_e32 v103, v221
	v_pk_fma_f32 v[238:239], v[72:73], s[20:21], v[104:105] op_sel:[0,0,1] op_sel_hi:[1,0,0]
	v_pk_fma_f32 v[228:229], v[72:73], s[20:21], v[104:105] op_sel:[0,0,1] op_sel_hi:[1,0,0] neg_lo:[0,0,1] neg_hi:[0,0,1]
	v_pk_mul_f32 v[106:107], v[78:79], s[46:47] op_sel_hi:[1,0]
	v_pk_add_f32 v[42:43], v[82:83], v[42:43]
	v_mov_b32_e32 v104, v238
	v_mov_b32_e32 v105, v229
	v_pk_fma_f32 v[242:243], v[186:187], s[8:9], v[106:107] op_sel:[0,0,1] op_sel_hi:[1,0,0]
	v_pk_fma_f32 v[236:237], v[186:187], s[8:9], v[106:107] op_sel:[0,0,1] op_sel_hi:[1,0,0] neg_lo:[0,0,1] neg_hi:[0,0,1]
	v_pk_mul_f32 v[108:109], v[84:85], s[22:23] op_sel_hi:[1,0]
	v_pk_add_f32 v[42:43], v[102:103], v[42:43]
	v_mov_b32_e32 v106, v242
	v_mov_b32_e32 v107, v237
	v_pk_fma_f32 v[248:249], v[80:81], s[10:11], v[108:109] op_sel:[0,0,1] op_sel_hi:[1,0,0]
	v_pk_fma_f32 v[240:241], v[80:81], s[10:11], v[108:109] op_sel:[0,0,1] op_sel_hi:[1,0,0] neg_lo:[0,0,1] neg_hi:[0,0,1]
	v_pk_mul_f32 v[110:111], v[188:189], s[14:15] op_sel_hi:[1,0]
	v_pk_add_f32 v[42:43], v[104:105], v[42:43]
	v_mov_b32_e32 v108, v248
	v_mov_b32_e32 v109, v241
	v_pk_fma_f32 v[250:251], v[86:87], s[12:13], v[110:111] op_sel:[0,0,1] op_sel_hi:[1,0,0]
	v_pk_fma_f32 v[244:245], v[86:87], s[12:13], v[110:111] op_sel:[0,0,1] op_sel_hi:[1,0,0] neg_lo:[0,0,1] neg_hi:[0,0,1]
	v_pk_add_f32 v[42:43], v[106:107], v[42:43]
	v_mov_b32_e32 v110, v250
	v_mov_b32_e32 v111, v245
	v_pk_add_f32 v[42:43], v[108:109], v[42:43]
	v_pk_mul_f32 v[82:83], v[170:171], s[42:43] op_sel_hi:[1,0]
	v_pk_add_f32 v[42:43], v[110:111], v[42:43]
	ds_write2_b64 v218, v[38:39], v[42:43] offset0:4 offset1:5
	v_pk_mul_f32 v[38:39], v[152:153], s[14:15] op_sel_hi:[1,0]
	v_pk_fma_f32 v[104:105], v[166:167], s[16:17], v[82:83] op_sel:[0,0,1] op_sel_hi:[1,0,0]
	v_pk_fma_f32 v[42:43], v[150:151], s[12:13], v[38:39] op_sel:[0,0,1] op_sel_hi:[1,0,0]
	v_pk_fma_f32 v[38:39], v[150:151], s[12:13], v[38:39] op_sel:[0,0,1] op_sel_hi:[1,0,0] neg_lo:[0,0,1] neg_hi:[0,0,1]
	v_mov_b32_e32 v74, v42
	v_mov_b32_e32 v75, v39
	v_pk_fma_f32 v[102:103], v[166:167], s[16:17], v[82:83] op_sel:[0,0,1] op_sel_hi:[1,0,0] neg_lo:[0,0,1] neg_hi:[0,0,1]
	v_pk_mul_f32 v[108:109], v[68:69], s[22:23] op_sel_hi:[1,0]
	v_pk_add_f32 v[74:75], v[32:33], v[74:75]
	v_mov_b32_e32 v82, v104
	v_mov_b32_e32 v83, v103
	v_pk_fma_f32 v[106:107], v[180:181], s[10:11], v[108:109] op_sel:[0,0,1] op_sel_hi:[1,0,0]
	v_pk_fma_f32 v[254:255], v[180:181], s[10:11], v[108:109] op_sel:[0,0,1] op_sel_hi:[1,0,0] neg_lo:[0,0,1] neg_hi:[0,0,1]
	v_pk_mul_f32 v[108:109], v[184:185], s[36:37] op_sel_hi:[1,0]
	v_mov_b32_e32 v126, v106
	v_mov_b32_e32 v127, v255
	v_pk_fma_f32 v[128:129], v[70:71], s[18:19], v[108:109] op_sel:[0,0,1] op_sel_hi:[1,0,0]
	v_pk_fma_f32 v[110:111], v[70:71], s[18:19], v[108:109] op_sel:[0,0,1] op_sel_hi:[1,0,0] neg_lo:[0,0,1] neg_hi:[0,0,1]
	v_pk_mul_f32 v[108:109], v[76:77], s[46:47] op_sel_hi:[1,0]
	v_pk_add_f32 v[74:75], v[82:83], v[74:75]
	v_mov_b32_e32 v120, v128
	v_mov_b32_e32 v121, v111
	v_pk_fma_f32 v[130:131], v[72:73], s[8:9], v[108:109] op_sel:[0,0,1] op_sel_hi:[1,0,0]
	v_pk_fma_f32 v[114:115], v[72:73], s[8:9], v[108:109] op_sel:[0,0,1] op_sel_hi:[1,0,0] neg_lo:[0,0,1] neg_hi:[0,0,1]
	v_pk_mul_f32 v[108:109], v[78:79], s[44:45] op_sel_hi:[1,0]
	v_pk_add_f32 v[74:75], v[126:127], v[74:75]
	;; [unrolled: 6-line block ×4, first 2 shown]
	v_mov_b32_e32 v112, v134
	v_mov_b32_e32 v113, v123
	v_pk_fma_f32 v[208:209], v[86:87], s[26:27], v[118:119] op_sel:[0,0,1] op_sel_hi:[1,0,0]
	v_pk_fma_f32 v[124:125], v[86:87], s[26:27], v[118:119] op_sel:[0,0,1] op_sel_hi:[1,0,0] neg_lo:[0,0,1] neg_hi:[0,0,1]
	v_pk_add_f32 v[74:75], v[108:109], v[74:75]
	v_mov_b32_e32 v118, v208
	v_mov_b32_e32 v119, v125
	v_pk_add_f32 v[74:75], v[112:113], v[74:75]
	v_pk_mul_f32 v[82:83], v[152:153], s[36:37] op_sel_hi:[1,0]
	v_pk_add_f32 v[74:75], v[118:119], v[74:75]
	v_pk_fma_f32 v[108:109], v[150:151], s[18:19], v[82:83] op_sel:[0,0,1] op_sel_hi:[1,0,0]
	v_pk_fma_f32 v[112:113], v[150:151], s[18:19], v[82:83] op_sel:[0,0,1] op_sel_hi:[1,0,0] neg_lo:[0,0,1] neg_hi:[0,0,1]
	v_pk_mul_f32 v[118:119], v[170:171], s[28:29] op_sel_hi:[1,0]
	v_mov_b32_e32 v82, v108
	v_mov_b32_e32 v83, v113
	v_pk_fma_f32 v[120:121], v[166:167], s[26:27], v[118:119] op_sel:[0,0,1] op_sel_hi:[1,0,0]
	v_pk_fma_f32 v[126:127], v[166:167], s[26:27], v[118:119] op_sel:[0,0,1] op_sel_hi:[1,0,0] neg_lo:[0,0,1] neg_hi:[0,0,1]
	v_pk_mul_f32 v[164:165], v[68:69], s[30:31] op_sel_hi:[1,0]
	v_pk_add_f32 v[82:83], v[32:33], v[82:83]
	v_mov_b32_e32 v118, v120
	v_mov_b32_e32 v119, v127
	v_pk_fma_f32 v[136:137], v[180:181], s[8:9], v[164:165] op_sel:[0,0,1] op_sel_hi:[1,0,0]
	v_pk_fma_f32 v[164:165], v[180:181], s[8:9], v[164:165] op_sel:[0,0,1] op_sel_hi:[1,0,0] neg_lo:[0,0,1] neg_hi:[0,0,1]
	v_pk_add_f32 v[82:83], v[118:119], v[82:83]
	v_mov_b32_e32 v118, v136
	v_mov_b32_e32 v119, v165
	v_pk_add_f32 v[82:83], v[118:119], v[82:83]
	v_pk_mul_f32 v[118:119], v[184:185], s[52:53] op_sel_hi:[1,0]
	v_mov_b32_e32 v179, v175
	v_pk_fma_f32 v[138:139], v[70:71], s[12:13], v[118:119] op_sel:[0,0,1] op_sel_hi:[1,0,0]
	v_pk_fma_f32 v[118:119], v[70:71], s[12:13], v[118:119] op_sel:[0,0,1] op_sel_hi:[1,0,0] neg_lo:[0,0,1] neg_hi:[0,0,1]
	v_mov_b32_e32 v232, v138
	v_mov_b32_e32 v233, v119
	v_pk_add_f32 v[82:83], v[232:233], v[82:83]
	v_pk_mul_f32 v[232:233], v[76:77], s[22:23] op_sel_hi:[1,0]
	v_pk_mul_f32 v[68:69], v[68:69], s[36:37] op_sel_hi:[1,0]
	v_pk_fma_f32 v[168:169], v[72:73], s[10:11], v[232:233] op_sel:[0,0,1] op_sel_hi:[1,0,0]
	v_pk_fma_f32 v[232:233], v[72:73], s[10:11], v[232:233] op_sel:[0,0,1] op_sel_hi:[1,0,0] neg_lo:[0,0,1] neg_hi:[0,0,1]
	v_mov_b32_e32 v158, v168
	v_mov_b32_e32 v159, v233
	v_pk_add_f32 v[82:83], v[158:159], v[82:83]
	v_pk_mul_f32 v[158:159], v[78:79], s[24:25] op_sel_hi:[1,0]
	v_mov_b32_e32 v113, v109
	v_pk_fma_f32 v[182:183], v[186:187], s[20:21], v[158:159] op_sel:[0,0,1] op_sel_hi:[1,0,0]
	v_pk_fma_f32 v[158:159], v[186:187], s[20:21], v[158:159] op_sel:[0,0,1] op_sel_hi:[1,0,0] neg_lo:[0,0,1] neg_hi:[0,0,1]
	v_mov_b32_e32 v176, v182
	v_mov_b32_e32 v177, v159
	v_pk_add_f32 v[82:83], v[176:177], v[82:83]
	v_pk_mul_f32 v[176:177], v[84:85], s[48:49] op_sel_hi:[1,0]
	v_mov_b32_e32 v39, v43
	;; [unrolled: 7-line block ×3, first 2 shown]
	v_pk_fma_f32 v[214:215], v[86:87], s[16:17], v[196:197] op_sel:[0,0,1] op_sel_hi:[1,0,0]
	v_pk_fma_f32 v[196:197], v[86:87], s[16:17], v[196:197] op_sel:[0,0,1] op_sel_hi:[1,0,0] neg_lo:[0,0,1] neg_hi:[0,0,1]
	v_mov_b32_e32 v210, v214
	v_mov_b32_e32 v211, v197
	v_pk_add_f32 v[82:83], v[210:211], v[82:83]
	ds_write2_b64 v218, v[74:75], v[82:83] offset0:6 offset1:7
	v_pk_add_f32 v[74:75], v[32:33], v[178:179]
	v_pk_add_f32 v[38:39], v[32:33], v[38:39]
	;; [unrolled: 1-line block ×3, first 2 shown]
	v_mov_b32_e32 v103, v105
	v_pk_add_f32 v[74:75], v[92:93], v[74:75]
	v_mov_b32_e32 v165, v137
	v_pk_add_f32 v[74:75], v[94:95], v[74:75]
	v_mov_b32_e32 v255, v107
	v_pk_add_f32 v[74:75], v[98:99], v[74:75]
	v_pk_mul_f32 v[98:99], v[184:185], s[48:49] op_sel_hi:[1,0]
	v_pk_add_f32 v[74:75], v[230:231], v[74:75]
	v_pk_add_f32 v[38:39], v[102:103], v[38:39]
	;; [unrolled: 1-line block ×3, first 2 shown]
	v_mov_b32_e32 v119, v139
	v_pk_add_f32 v[174:175], v[252:253], v[74:75]
	v_pk_mul_f32 v[74:75], v[152:153], s[24:25] op_sel_hi:[1,0]
	v_mov_b32_e32 v111, v129
	v_pk_fma_f32 v[82:83], v[150:151], s[20:21], v[74:75] op_sel:[0,0,1] op_sel_hi:[1,0,0]
	v_pk_fma_f32 v[90:91], v[150:151], s[20:21], v[74:75] op_sel:[0,0,1] op_sel_hi:[1,0,0] neg_lo:[0,0,1] neg_hi:[0,0,1]
	v_pk_mul_f32 v[74:75], v[170:171], s[40:41] op_sel_hi:[1,0]
	v_pk_fma_f32 v[150:151], v[70:71], s[38:39], v[98:99] op_sel:[0,0,1] op_sel_hi:[1,0,0]
	v_pk_fma_f32 v[98:99], v[70:71], s[38:39], v[98:99] op_sel:[0,0,1] op_sel_hi:[1,0,0] neg_lo:[0,0,1] neg_hi:[0,0,1]
	v_pk_mul_f32 v[70:71], v[76:77], s[14:15] op_sel_hi:[1,0]
	v_pk_fma_f32 v[92:93], v[166:167], s[10:11], v[74:75] op_sel:[0,0,1] op_sel_hi:[1,0,0]
	v_pk_fma_f32 v[94:95], v[166:167], s[10:11], v[74:75] op_sel:[0,0,1] op_sel_hi:[1,0,0] neg_lo:[0,0,1] neg_hi:[0,0,1]
	v_pk_fma_f32 v[152:153], v[72:73], s[12:13], v[70:71] op_sel:[0,0,1] op_sel_hi:[1,0,0]
	v_pk_fma_f32 v[166:167], v[72:73], s[12:13], v[70:71] op_sel:[0,0,1] op_sel_hi:[1,0,0] neg_lo:[0,0,1] neg_hi:[0,0,1]
	v_pk_mul_f32 v[70:71], v[78:79], s[28:29] op_sel_hi:[1,0]
	v_pk_fma_f32 v[74:75], v[180:181], s[18:19], v[68:69] op_sel:[0,0,1] op_sel_hi:[1,0,0]
	v_pk_fma_f32 v[170:171], v[186:187], s[26:27], v[70:71] op_sel:[0,0,1] op_sel_hi:[1,0,0]
	v_pk_fma_f32 v[178:179], v[186:187], s[26:27], v[70:71] op_sel:[0,0,1] op_sel_hi:[1,0,0] neg_lo:[0,0,1] neg_hi:[0,0,1]
	v_pk_mul_f32 v[70:71], v[84:85], s[34:35] op_sel_hi:[1,0]
	v_pk_fma_f32 v[68:69], v[180:181], s[18:19], v[68:69] op_sel:[0,0,1] op_sel_hi:[1,0,0] neg_lo:[0,0,1] neg_hi:[0,0,1]
	v_pk_fma_f32 v[84:85], v[80:81], s[16:17], v[70:71] op_sel:[0,0,1] op_sel_hi:[1,0,0]
	v_pk_fma_f32 v[180:181], v[80:81], s[16:17], v[70:71] op_sel:[0,0,1] op_sel_hi:[1,0,0] neg_lo:[0,0,1] neg_hi:[0,0,1]
	v_pk_mul_f32 v[70:71], v[188:189], s[46:47] op_sel_hi:[1,0]
	v_mov_b32_e32 v72, v92
	v_pk_fma_f32 v[184:185], v[86:87], s[8:9], v[70:71] op_sel:[0,0,1] op_sel_hi:[1,0,0]
	v_pk_fma_f32 v[86:87], v[86:87], s[8:9], v[70:71] op_sel:[0,0,1] op_sel_hi:[1,0,0] neg_lo:[0,0,1] neg_hi:[0,0,1]
	v_mov_b32_e32 v70, v82
	v_mov_b32_e32 v71, v91
	v_pk_add_f32 v[70:71], v[32:33], v[70:71]
	v_mov_b32_e32 v73, v95
	v_pk_add_f32 v[70:71], v[72:73], v[70:71]
	v_mov_b32_e32 v72, v74
	v_mov_b32_e32 v73, v69
	v_pk_add_f32 v[70:71], v[72:73], v[70:71]
	v_mov_b32_e32 v72, v150
	;; [unrolled: 3-line block ×4, first 2 shown]
	v_mov_b32_e32 v73, v179
	v_mov_b32_e32 v91, v83
	v_pk_add_f32 v[70:71], v[72:73], v[70:71]
	v_mov_b32_e32 v72, v84
	v_mov_b32_e32 v73, v181
	v_mov_b32_e32 v95, v93
	v_mov_b32_e32 v181, v85
	v_pk_add_f32 v[84:85], v[32:33], v[90:91]
	v_mov_b32_e32 v69, v75
	v_pk_add_f32 v[84:85], v[94:95], v[84:85]
	v_mov_b32_e32 v99, v151
	;; [unrolled: 2-line block ×4, first 2 shown]
	v_pk_add_f32 v[68:69], v[166:167], v[68:69]
	v_pk_add_f32 v[70:71], v[72:73], v[70:71]
	;; [unrolled: 1-line block ×3, first 2 shown]
	v_mov_b32_e32 v72, v184
	v_mov_b32_e32 v73, v87
	;; [unrolled: 1-line block ×3, first 2 shown]
	v_pk_add_f32 v[68:69], v[180:181], v[68:69]
	v_pk_add_f32 v[186:187], v[72:73], v[70:71]
	;; [unrolled: 1-line block ×3, first 2 shown]
	ds_write2_b64 v218, v[186:187], v[68:69] offset0:8 offset1:9
	v_pk_add_f32 v[68:69], v[32:33], v[112:113]
	v_pk_add_f32 v[38:39], v[254:255], v[38:39]
	;; [unrolled: 1-line block ×3, first 2 shown]
	v_mov_b32_e32 v233, v169
	v_pk_add_f32 v[68:69], v[164:165], v[68:69]
	v_mov_b32_e32 v115, v131
	v_pk_add_f32 v[68:69], v[118:119], v[68:69]
	v_pk_add_f32 v[38:39], v[110:111], v[38:39]
	v_mov_b32_e32 v159, v183
	v_pk_add_f32 v[68:69], v[232:233], v[68:69]
	v_mov_b32_e32 v117, v133
	;; [unrolled: 2-line block ×6, first 2 shown]
	v_pk_add_f32 v[38:39], v[122:123], v[38:39]
	v_pk_add_f32 v[68:69], v[196:197], v[68:69]
	;; [unrolled: 1-line block ×3, first 2 shown]
	v_mov_b32_e32 v225, v55
	v_mov_b32_e32 v199, v65
	ds_write2_b64 v218, v[68:69], v[38:39] offset0:10 offset1:11
	v_pk_add_f32 v[38:39], v[32:33], v[224:225]
	v_mov_b32_e32 v97, v227
	v_pk_add_f32 v[42:43], v[32:33], v[198:199]
	v_mov_b32_e32 v191, v157
	v_mov_b32_e32 v101, v51
	v_pk_add_f32 v[38:39], v[96:97], v[38:39]
	v_mov_b32_e32 v193, v149
	v_pk_add_f32 v[42:43], v[190:191], v[42:43]
	;; [unrolled: 2-line block ×12, first 2 shown]
	v_accvgpr_read_b32 v73, a43
	v_pk_add_f32 v[38:39], v[244:245], v[38:39]
	v_pk_add_f32 v[42:43], v[216:217], v[42:43]
	v_mov_b32_e32 v145, v35
	v_mov_b32_e32 v173, v141
	v_accvgpr_read_b32 v141, a97
	v_accvgpr_read_b32 v72, a42
	;; [unrolled: 1-line block ×3, first 2 shown]
	ds_write2_b64 v218, v[38:39], v[42:43] offset0:12 offset1:13
	v_pk_add_f32 v[38:39], v[32:33], v[144:145]
	v_mov_b32_e32 v65, v37
	v_mov_b32_e32 v35, v219
	v_pk_add_f32 v[32:33], v[32:33], v[140:141]
	v_mov_b32_e32 v70, v72
	v_mov_b32_e32 v71, v72
	;; [unrolled: 1-line block ×3, first 2 shown]
	v_accvgpr_read_b32 v74, a44
	v_mov_b32_e32 v67, v41
	v_pk_add_f32 v[38:39], v[64:65], v[38:39]
	v_accvgpr_read_b32 v37, a69
	v_pk_add_f32 v[32:33], v[34:35], v[32:33]
	v_mov_b64_e32 v[188:189], v[72:73]
	v_mov_b32_e32 v72, v74
	v_mov_b32_e32 v73, v74
	;; [unrolled: 1-line block ×4, first 2 shown]
	v_pk_add_f32 v[38:39], v[66:67], v[38:39]
	v_accvgpr_read_b32 v41, a87
	v_pk_add_f32 v[32:33], v[36:37], v[32:33]
	v_mov_b64_e32 v[210:211], v[74:75]
	v_accvgpr_read_b32 v75, a47
	v_mov_b32_e32 v155, v49
	v_pk_add_f32 v[38:39], v[146:147], v[38:39]
	v_accvgpr_read_b32 v45, a89
	v_pk_add_f32 v[32:33], v[40:41], v[32:33]
	v_accvgpr_read_b32 v74, a46
	v_mov_b32_e32 v161, v53
	v_pk_add_f32 v[38:39], v[154:155], v[38:39]
	v_accvgpr_read_b32 v49, a91
	v_pk_add_f32 v[32:33], v[44:45], v[32:33]
	v_mov_b32_e32 v76, v74
	v_mov_b32_e32 v77, v74
	;; [unrolled: 1-line block ×4, first 2 shown]
	v_pk_add_f32 v[38:39], v[160:161], v[38:39]
	v_accvgpr_read_b32 v53, a93
	v_pk_add_f32 v[32:33], v[48:49], v[32:33]
	v_mov_b64_e32 v[150:151], v[74:75]
	v_accvgpr_read_b32 v75, a49
	v_pk_add_f32 v[38:39], v[162:163], v[38:39]
	v_accvgpr_read_b32 v59, a95
	v_pk_add_f32 v[32:33], v[52:53], v[32:33]
	;; [unrolled: 2-line block ×3, first 2 shown]
	v_pk_add_f32 v[32:33], v[58:59], v[32:33]
	v_mov_b32_e32 v78, v74
	v_mov_b32_e32 v79, v74
	;; [unrolled: 1-line block ×3, first 2 shown]
	ds_write2_b64 v218, v[38:39], v[32:33] offset0:14 offset1:15
	ds_write_b64 v218, v[174:175] offset:128
	v_add_u32_e32 v32, 0x1400, v205
	v_mov_b64_e32 v[152:153], v[74:75]
	v_accvgpr_read_b32 v75, a51
	s_waitcnt lgkmcnt(0)
	s_barrier
	ds_read2_b64 v[56:59], v205 offset1:68
	ds_read2_b64 v[60:63], v46 offset0:66 offset1:134
	ds_read2_b64 v[48:51], v205 offset0:136 offset1:204
	;; [unrolled: 1-line block ×6, first 2 shown]
	v_accvgpr_read_b32 v74, a50
	v_add_u32_e32 v36, 0x1c00, v205
	v_mov_b32_e32 v80, v74
	v_mov_b32_e32 v81, v74
	;; [unrolled: 1-line block ×3, first 2 shown]
	ds_read2_b64 v[36:39], v36 offset0:90 offset1:158
	v_mov_b64_e32 v[170:171], v[74:75]
	v_accvgpr_read_b32 v75, a53
	v_accvgpr_read_b32 v74, a52
	;; [unrolled: 1-line block ×4, first 2 shown]
	v_mov_b32_e32 v82, v74
	v_mov_b32_e32 v83, v74
	;; [unrolled: 1-line block ×3, first 2 shown]
	v_accvgpr_read_b32 v92, a54
	v_accvgpr_read_b32 v102, a56
	v_mov_b64_e32 v[230:231], v[74:75]
	v_mov_b32_e32 v74, v92
	v_mov_b32_e32 v75, v92
	;; [unrolled: 1-line block ×7, first 2 shown]
	s_and_saveexec_b64 s[8:9], s[0:1]
	s_cbranch_execz .LBB0_11
; %bb.10:
	ds_read_b64 v[174:175], v205 offset:4352
	ds_read_b64 v[222:223], v205 offset:8976
.LBB0_11:
	s_or_b64 exec, exec, s[8:9]
	v_accvgpr_read_b32 v129, a41
	v_accvgpr_read_b32 v128, a40
	s_waitcnt lgkmcnt(0)
	v_pk_mul_f32 v[124:125], v[102:103], v[38:39]
	v_pk_mul_f32 v[102:103], v[128:129], v[222:223] op_sel:[0,1]
	v_pk_mul_f32 v[110:111], v[188:189], v[60:61]
	v_pk_fma_f32 v[126:127], v[128:129], v[222:223], v[102:103] op_sel:[0,0,1] op_sel_hi:[1,1,0]
	v_pk_fma_f32 v[102:103], v[128:129], v[222:223], v[102:103] op_sel:[0,0,1] op_sel_hi:[1,0,0] neg_lo:[1,0,0] neg_hi:[1,0,0]
	v_pk_mul_f32 v[112:113], v[210:211], v[62:63]
	v_mov_b32_e32 v127, v103
	v_pk_add_f32 v[102:103], v[174:175], v[126:127] neg_lo:[0,1] neg_hi:[0,1]
	v_pk_fma_f32 v[126:127], v[70:71], v[60:61], v[110:111] op_sel:[0,0,1] op_sel_hi:[1,1,0]
	v_pk_fma_f32 v[60:61], v[70:71], v[60:61], v[110:111] op_sel:[0,0,1] op_sel_hi:[1,1,0] neg_lo:[0,0,1] neg_hi:[0,0,1]
	v_accvgpr_read_b32 v70, a39
	v_mov_b32_e32 v127, v61
	v_pk_add_f32 v[60:61], v[56:57], v[126:127] neg_lo:[0,1] neg_hi:[0,1]
	s_nop 0
	v_pk_fma_f32 v[56:57], v[56:57], 2.0, v[60:61] op_sel_hi:[1,0,1] neg_lo:[0,0,1] neg_hi:[0,0,1]
	s_barrier
	ds_write2_b64 v70, v[56:57], v[60:61] offset1:17
	v_pk_fma_f32 v[56:57], v[72:73], v[62:63], v[112:113] op_sel:[0,0,1] op_sel_hi:[1,1,0]
	v_pk_fma_f32 v[60:61], v[72:73], v[62:63], v[112:113] op_sel:[0,0,1] op_sel_hi:[1,1,0] neg_lo:[0,0,1] neg_hi:[0,0,1]
	v_pk_mul_f32 v[114:115], v[150:151], v[52:53]
	v_mov_b32_e32 v57, v61
	v_pk_add_f32 v[56:57], v[58:59], v[56:57] neg_lo:[0,1] neg_hi:[0,1]
	v_accvgpr_read_b32 v60, a58
	v_pk_fma_f32 v[58:59], v[58:59], 2.0, v[56:57] op_sel_hi:[1,0,1] neg_lo:[0,0,1] neg_hi:[0,0,1]
	ds_write2_b64 v60, v[58:59], v[56:57] offset1:17
	v_pk_fma_f32 v[56:57], v[76:77], v[52:53], v[114:115] op_sel:[0,0,1] op_sel_hi:[1,1,0]
	v_pk_fma_f32 v[52:53], v[76:77], v[52:53], v[114:115] op_sel:[0,0,1] op_sel_hi:[1,1,0] neg_lo:[0,0,1] neg_hi:[0,0,1]
	v_pk_mul_f32 v[116:117], v[152:153], v[54:55]
	v_mov_b32_e32 v57, v53
	v_pk_add_f32 v[52:53], v[48:49], v[56:57] neg_lo:[0,1] neg_hi:[0,1]
	v_accvgpr_read_b32 v56, a59
	v_pk_fma_f32 v[48:49], v[48:49], 2.0, v[52:53] op_sel_hi:[1,0,1] neg_lo:[0,0,1] neg_hi:[0,0,1]
	;; [unrolled: 8-line block ×5, first 2 shown]
	ds_write2_b64 v44, v[42:43], v[40:41] offset1:17
	v_pk_fma_f32 v[40:41], v[74:75], v[36:37], v[122:123] op_sel:[0,0,1] op_sel_hi:[1,1,0]
	v_pk_fma_f32 v[36:37], v[74:75], v[36:37], v[122:123] op_sel:[0,0,1] op_sel_hi:[1,1,0] neg_lo:[0,0,1] neg_hi:[0,0,1]
	v_mov_b32_e32 v64, v4
	v_mov_b32_e32 v41, v37
	v_pk_add_f32 v[36:37], v[32:33], v[40:41] neg_lo:[0,1] neg_hi:[0,1]
	v_accvgpr_read_b32 v40, a63
	v_pk_fma_f32 v[32:33], v[32:33], 2.0, v[36:37] op_sel_hi:[1,0,1] neg_lo:[0,0,1] neg_hi:[0,0,1]
	ds_write2_b64 v40, v[32:33], v[36:37] offset1:17
	v_pk_fma_f32 v[32:33], v[108:109], v[38:39], v[124:125] op_sel:[0,0,1] op_sel_hi:[1,1,0]
	v_pk_fma_f32 v[36:37], v[108:109], v[38:39], v[124:125] op_sel:[0,0,1] op_sel_hi:[1,1,0] neg_lo:[0,0,1] neg_hi:[0,0,1]
	v_mov_b32_e32 v65, v4
	v_mov_b32_e32 v33, v37
	v_pk_add_f32 v[32:33], v[34:35], v[32:33] neg_lo:[0,1] neg_hi:[0,1]
	v_mov_b32_e32 v4, v5
	v_mov_b32_e32 v96, v22
	;; [unrolled: 1-line block ×40, first 2 shown]
	v_pk_fma_f32 v[34:35], v[34:35], 2.0, v[32:33] op_sel_hi:[1,0,1] neg_lo:[0,0,1] neg_hi:[0,0,1]
	v_accvgpr_read_b32 v36, a64
	ds_write2_b64 v36, v[34:35], v[32:33] offset1:17
	s_and_saveexec_b64 s[8:9], s[0:1]
	s_cbranch_execz .LBB0_13
; %bb.12:
	v_accvgpr_read_b32 v32, a19
	v_accvgpr_read_b32 v33, a65
	v_lshl_add_u32 v34, v33, 3, v32
	v_pk_fma_f32 v[32:33], v[174:175], 2.0, v[102:103] op_sel_hi:[1,0,1] neg_lo:[0,0,1] neg_hi:[0,0,1]
	ds_write2_b64 v34, v[32:33], v[102:103] offset1:17
.LBB0_13:
	s_or_b64 exec, exec, s[8:9]
	v_add_u32_e32 v126, 0x800, v205
	s_waitcnt lgkmcnt(0)
	s_barrier
	ds_read2_b64 v[32:35], v126 offset0:152 offset1:220
	ds_read2_b64 v[108:111], v205 offset0:136 offset1:204
	v_mov_b32_e32 v40, v7
	v_add_u32_e32 v127, 0x1000, v205
	v_add_u32_e32 v204, 0x1800, v205
	s_waitcnt lgkmcnt(1)
	v_pk_mul_f32 v[40:41], v[40:41], v[32:33] op_sel:[0,1] op_sel_hi:[1,0]
	ds_read2_b64 v[36:39], v127 offset0:32 offset1:100
	v_pk_fma_f32 v[54:55], v[6:7], v[32:33], v[40:41]
	v_pk_mul_f32 v[40:41], v[6:7], v[32:33] op_sel:[0,1] op_sel_hi:[1,0]
	s_mov_b32 s24, 0xbf4c4adb
	v_mov_b32_e32 v40, v41
	v_pk_fma_f32 v[56:57], v[6:7], v[32:33], v[40:41] op_sel:[0,1,0] op_sel_hi:[1,0,1] neg_lo:[0,0,1] neg_hi:[0,0,1]
	v_mov_b32_e32 v6, v21
	v_pk_mul_f32 v[6:7], v[6:7], v[34:35] op_sel:[0,1] op_sel_hi:[1,0]
	s_waitcnt lgkmcnt(0)
	v_pk_mul_f32 v[28:29], v[28:29], v[38:39]
	v_pk_fma_f32 v[58:59], v[20:21], v[34:35], v[6:7]
	v_pk_mul_f32 v[6:7], v[20:21], v[34:35] op_sel:[0,1] op_sel_hi:[1,0]
	v_pk_fma_f32 v[82:83], v[94:95], v[38:39], v[28:29] op_sel:[0,0,1] op_sel_hi:[1,1,0]
	v_mov_b32_e32 v6, v7
	v_pk_fma_f32 v[20:21], v[20:21], v[34:35], v[6:7] op_sel:[0,1,0] op_sel_hi:[1,0,1] neg_lo:[0,0,1] neg_hi:[0,0,1]
	ds_read2_b64 v[32:35], v127 offset0:168 offset1:236
	ds_read2_b64 v[46:49], v204 offset0:48 offset1:116
	;; [unrolled: 1-line block ×3, first 2 shown]
	ds_read_b64 v[6:7], v205 offset:8704
	v_pk_fma_f32 v[28:29], v[94:95], v[38:39], v[28:29] op_sel:[0,0,1] op_sel_hi:[1,1,0] neg_lo:[0,0,1] neg_hi:[0,0,1]
	s_mov_b32 s25, 0xbf1a4643
	s_waitcnt lgkmcnt(2)
	v_pk_mul_f32 v[16:17], v[16:17], v[48:49]
	s_waitcnt lgkmcnt(1)
	v_pk_mul_f32 v[12:13], v[12:13], v[52:53]
	v_pk_mul_f32 v[30:31], v[30:31], v[32:33]
	v_pk_fma_f32 v[78:79], v[100:101], v[52:53], v[12:13] op_sel:[0,0,1] op_sel_hi:[1,1,0]
	v_pk_fma_f32 v[12:13], v[100:101], v[52:53], v[12:13] op_sel:[0,0,1] op_sel_hi:[1,1,0] neg_lo:[0,0,1] neg_hi:[0,0,1]
	v_pk_mul_f32 v[24:25], v[24:25], v[34:35]
	v_mov_b32_e32 v79, v13
	s_waitcnt lgkmcnt(0)
	v_pk_mul_f32 v[12:13], v[14:15], v[6:7]
	v_pk_fma_f32 v[38:39], v[92:93], v[32:33], v[30:31] op_sel:[0,0,1] op_sel_hi:[1,1,0]
	v_pk_fma_f32 v[30:31], v[92:93], v[32:33], v[30:31] op_sel:[0,0,1] op_sel_hi:[1,1,0] neg_lo:[0,0,1] neg_hi:[0,0,1]
	v_pk_fma_f32 v[32:33], v[90:91], v[34:35], v[24:25] op_sel:[0,0,1] op_sel_hi:[1,1,0]
	v_pk_fma_f32 v[80:81], v[98:99], v[6:7], v[12:13] op_sel:[0,0,1] op_sel_hi:[1,1,0]
	v_pk_fma_f32 v[6:7], v[98:99], v[6:7], v[12:13] op_sel:[0,0,1] op_sel_hi:[1,1,0] neg_lo:[0,0,1] neg_hi:[0,0,1]
	v_pk_fma_f32 v[72:73], v[106:107], v[48:49], v[16:17] op_sel:[0,0,1] op_sel_hi:[1,1,0]
	v_pk_fma_f32 v[16:17], v[106:107], v[48:49], v[16:17] op_sel:[0,0,1] op_sel_hi:[1,1,0] neg_lo:[0,0,1] neg_hi:[0,0,1]
	v_mov_b32_e32 v81, v7
	v_pk_add_f32 v[6:7], v[54:55], v[32:33]
	v_pk_add_f32 v[12:13], v[54:55], v[32:33] neg_lo:[0,1] neg_hi:[0,1]
	v_pk_mul_f32 v[22:23], v[22:23], v[36:37]
	v_pk_fma_f32 v[24:25], v[90:91], v[34:35], v[24:25] op_sel:[0,0,1] op_sel_hi:[1,1,0] neg_lo:[0,0,1] neg_hi:[0,0,1]
	v_mov_b32_e32 v73, v17
	v_pk_mul_f32 v[16:17], v[18:19], v[50:51]
	v_mov_b32_e32 v7, v12
	s_mov_b32 s10, s25
	s_mov_b32 s11, s24
	v_pk_fma_f32 v[60:61], v[96:97], v[36:37], v[22:23] op_sel:[0,0,1] op_sel_hi:[1,1,0]
	v_pk_fma_f32 v[22:23], v[96:97], v[36:37], v[22:23] op_sel:[0,0,1] op_sel_hi:[1,1,0] neg_lo:[0,0,1] neg_hi:[0,0,1]
	v_mov_b32_e32 v63, v25
	v_pk_fma_f32 v[74:75], v[104:105], v[50:51], v[16:17] op_sel:[0,0,1] op_sel_hi:[1,1,0]
	v_pk_fma_f32 v[16:17], v[104:105], v[50:51], v[16:17] op_sel:[0,0,1] op_sel_hi:[1,1,0] neg_lo:[0,0,1] neg_hi:[0,0,1]
	v_pk_add_f32 v[12:13], v[56:57], v[24:25] op_sel:[0,1] neg_lo:[0,1] neg_hi:[0,1]
	v_pk_add_f32 v[36:37], v[56:57], v[24:25] op_sel_hi:[0,1]
	v_pk_mul_f32 v[24:25], v[6:7], s[10:11]
	s_mov_b32 s30, 0xbf06c442
	v_mov_b32_e32 v75, v17
	v_mov_b32_e32 v36, v12
	v_pk_fma_f32 v[48:49], v[12:13], s[24:25], v[24:25] neg_lo:[1,0,0] neg_hi:[1,0,0]
	v_pk_add_f32 v[16:17], v[58:59], v[38:39]
	v_pk_add_f32 v[12:13], v[58:59], v[38:39] neg_lo:[0,1] neg_hi:[0,1]
	s_mov_b32 s31, 0xbf59a7d5
	v_mov_b32_e32 v17, v12
	s_mov_b32 s8, s31
	s_mov_b32 s9, s30
	v_mov_b32_e32 v44, v38
	v_mov_b32_e32 v99, v20
	v_pk_add_f32 v[12:13], v[20:21], v[30:31] op_sel:[0,1] neg_lo:[0,1] neg_hi:[0,1]
	v_pk_add_f32 v[38:39], v[20:21], v[30:31] op_sel_hi:[0,1]
	v_pk_mul_f32 v[20:21], v[16:17], s[8:9]
	s_mov_b32 s34, 0xbe3c28d5
	v_mov_b32_e32 v38, v12
	v_pk_fma_f32 v[50:51], v[12:13], s[30:31], v[20:21] neg_lo:[1,0,0] neg_hi:[1,0,0]
	v_pk_add_f32 v[18:19], v[60:61], v[82:83]
	v_pk_add_f32 v[12:13], v[60:61], v[82:83] neg_lo:[0,1] neg_hi:[0,1]
	s_mov_b32 s35, 0xbf7ba420
	v_pk_mul_f32 v[26:27], v[26:27], v[46:47]
	v_mov_b32_e32 v19, v12
	s_mov_b32 s16, s35
	s_mov_b32 s17, s34
	v_mov_b32_e32 v41, v23
	v_pk_fma_f32 v[92:93], v[88:89], v[46:47], v[26:27] op_sel:[0,0,1] op_sel_hi:[1,1,0]
	v_pk_fma_f32 v[94:95], v[88:89], v[46:47], v[26:27] op_sel:[0,0,1] op_sel_hi:[1,1,0] neg_lo:[0,0,1] neg_hi:[0,0,1]
	v_pk_add_f32 v[12:13], v[22:23], v[28:29] neg_lo:[0,1] neg_hi:[0,1]
	v_pk_add_f32 v[46:47], v[22:23], v[28:29]
	v_pk_mul_f32 v[22:23], v[18:19], s[16:17]
	v_mov_b32_e32 v40, v60
	v_mov_b32_e32 v46, v13
	v_pk_fma_f32 v[60:61], v[12:13], s[34:35], v[22:23] op_sel:[1,0,0] neg_lo:[1,0,0] neg_hi:[1,0,0]
	ds_read2_b64 v[12:15], v205 offset1:68
	ds_read2_b64 v[88:91], v126 offset0:16 offset1:84
	s_mov_b32 s58, 0x3f763a35
	s_mov_b32 s59, 0xbe8c1d8e
	;; [unrolled: 1-line block ×3, first 2 shown]
	s_waitcnt lgkmcnt(1)
	v_pk_mul_f32 v[0:1], v[0:1], v[14:15]
	s_mov_b32 s36, s59
	v_pk_fma_f32 v[132:133], v[68:69], v[14:15], v[0:1] op_sel:[0,0,1] op_sel_hi:[1,1,0]
	v_pk_fma_f32 v[0:1], v[68:69], v[14:15], v[0:1] op_sel:[0,0,1] op_sel_hi:[1,1,0] neg_lo:[0,0,1] neg_hi:[0,0,1]
	s_mov_b32 s37, s48
	v_mov_b32_e32 v133, v1
	v_pk_mul_f32 v[0:1], v[2:3], v[108:109]
	s_mov_b32 s46, 0x3eb8f4ab
	v_pk_fma_f32 v[2:3], v[66:67], v[108:109], v[0:1] op_sel:[0,0,1] op_sel_hi:[1,1,0]
	v_pk_fma_f32 v[0:1], v[66:67], v[108:109], v[0:1] op_sel:[0,0,1] op_sel_hi:[1,1,0] neg_lo:[0,0,1] neg_hi:[0,0,1]
	s_mov_b32 s49, s59
	v_mov_b32_e32 v3, v1
	s_waitcnt lgkmcnt(0)
	v_pk_mul_f32 v[0:1], v[4:5], v[90:91]
	s_mov_b32 s47, 0x3f6eb680
	v_pk_fma_f32 v[4:5], v[64:65], v[90:91], v[0:1] op_sel:[0,0,1] op_sel_hi:[1,1,0]
	v_pk_fma_f32 v[14:15], v[64:65], v[90:91], v[0:1] op_sel:[0,0,1] op_sel_hi:[1,1,0] neg_lo:[0,0,1] neg_hi:[0,0,1]
	v_mov_b32_e32 v64, v4
	v_pk_add_f32 v[0:1], v[4:5], v[92:93]
	v_pk_add_f32 v[4:5], v[4:5], v[92:93] neg_lo:[0,1] neg_hi:[0,1]
	v_mov_b32_e32 v65, v15
	v_mov_b32_e32 v1, v4
	v_pk_add_f32 v[4:5], v[14:15], v[94:95] neg_lo:[0,1] neg_hi:[0,1]
	v_pk_add_f32 v[90:91], v[14:15], v[94:95]
	v_pk_mul_f32 v[14:15], v[0:1], s[36:37]
	v_mov_b32_e32 v90, v5
	v_pk_fma_f32 v[164:165], v[4:5], s[48:49], v[14:15] op_sel:[1,0,0] neg_lo:[1,0,0] neg_hi:[1,0,0]
	v_pk_add_f32 v[4:5], v[12:13], v[132:133]
	v_pk_add_f32 v[158:159], v[132:133], v[80:81] neg_lo:[0,1] neg_hi:[0,1]
	s_mov_b32 s56, 0xbeb8f4ab
	v_pk_mul_f32 v[8:9], v[8:9], v[110:111]
	v_pk_add_f32 v[68:69], v[4:5], v[2:3]
	v_pk_add_f32 v[156:157], v[132:133], v[80:81]
	s_mov_b32 s54, s47
	v_pk_mul_f32 v[4:5], v[158:159], s[56:57] op_sel_hi:[1,0]
	v_pk_add_f32 v[162:163], v[2:3], v[78:79] neg_lo:[0,1] neg_hi:[0,1]
	s_mov_b32 s68, 0xbf2c7751
	v_pk_fma_f32 v[104:105], v[86:87], v[110:111], v[8:9] op_sel:[0,0,1] op_sel_hi:[1,1,0]
	v_pk_fma_f32 v[8:9], v[86:87], v[110:111], v[8:9] op_sel:[0,0,1] op_sel_hi:[1,1,0] neg_lo:[0,0,1] neg_hi:[0,0,1]
	v_pk_fma_f32 v[168:169], v[156:157], s[54:55], v[4:5] op_sel:[0,0,1] op_sel_hi:[1,0,0]
	v_pk_fma_f32 v[166:167], v[156:157], s[54:55], v[4:5] op_sel:[0,0,1] op_sel_hi:[1,0,0] neg_lo:[0,0,1] neg_hi:[0,0,1]
	v_pk_add_f32 v[160:161], v[2:3], v[78:79]
	s_mov_b32 s28, 0x3f3d2fb0
	v_pk_mul_f32 v[2:3], v[162:163], s[68:69] op_sel_hi:[1,0]
	v_mov_b32_e32 v105, v9
	v_pk_mul_f32 v[8:9], v[10:11], v[88:89]
	v_mov_b32_e32 v4, v168
	v_mov_b32_e32 v5, v167
	v_pk_fma_f32 v[172:173], v[160:161], s[28:29], v[2:3] op_sel:[0,0,1] op_sel_hi:[1,0,0]
	v_pk_fma_f32 v[170:171], v[160:161], s[28:29], v[2:3] op_sel:[0,0,1] op_sel_hi:[1,0,0] neg_lo:[0,0,1] neg_hi:[0,0,1]
	v_pk_fma_f32 v[86:87], v[84:85], v[88:89], v[8:9] op_sel:[0,0,1] op_sel_hi:[1,1,0]
	v_pk_fma_f32 v[8:9], v[84:85], v[88:89], v[8:9] op_sel:[0,0,1] op_sel_hi:[1,1,0] neg_lo:[0,0,1] neg_hi:[0,0,1]
	v_pk_add_f32 v[4:5], v[12:13], v[4:5]
	v_mov_b32_e32 v2, v172
	v_mov_b32_e32 v3, v171
	;; [unrolled: 1-line block ×4, first 2 shown]
	v_pk_fma_f32 v[66:67], v[90:91], s[48:49], v[14:15]
	v_pk_add_f32 v[92:93], v[2:3], v[4:5]
	v_pk_fma_f32 v[2:3], v[90:91], s[48:49], v[14:15] neg_lo:[0,0,1] neg_hi:[0,0,1]
	v_pk_add_f32 v[14:15], v[68:69], v[104:105]
	v_mov_b32_e32 v96, v54
	v_pk_add_f32 v[14:15], v[14:15], v[86:87]
	v_mov_b32_e32 v97, v56
	;; [unrolled: 2-line block ×8, first 2 shown]
	v_pk_add_f32 v[14:15], v[14:15], v[62:63]
	s_mov_b32 s52, 0xbf7ee86f
	v_pk_add_f32 v[14:15], v[14:15], v[70:71]
	v_pk_mul_f32 v[40:41], v[158:159], s[68:69] op_sel_hi:[1,0]
	v_pk_add_f32 v[14:15], v[14:15], v[72:73]
	s_mov_b32 s62, 0xbf65296c
	v_pk_add_f32 v[14:15], v[14:15], v[74:75]
	s_mov_b32 s53, 0x3dbcf732
	v_pk_add_f32 v[14:15], v[14:15], v[78:79]
	v_pk_fma_f32 v[76:77], v[36:37], s[24:25], v[24:25]
	v_pk_add_f32 v[62:63], v[14:15], v[80:81]
	v_pk_fma_f32 v[14:15], v[156:157], s[28:29], v[40:41] op_sel:[0,0,1] op_sel_hi:[1,0,0]
	v_pk_fma_f32 v[40:41], v[156:157], s[28:29], v[40:41] op_sel:[0,0,1] op_sel_hi:[1,0,0] neg_lo:[0,0,1] neg_hi:[0,0,1]
	v_pk_fma_f32 v[24:25], v[36:37], s[24:25], v[24:25] neg_lo:[0,0,1] neg_hi:[0,0,1]
	v_pk_add_f32 v[52:53], v[104:105], v[74:75]
	v_pk_add_f32 v[54:55], v[104:105], v[74:75] neg_lo:[0,1] neg_hi:[0,1]
	s_mov_b32 s63, 0x3ee437d1
	v_mov_b32_e32 v42, v14
	v_mov_b32_e32 v43, v41
	s_mov_b32 s66, s53
	v_pk_mul_f32 v[44:45], v[162:163], s[52:53] op_sel_hi:[1,0]
	v_mov_b32_e32 v49, v77
	v_mov_b32_e32 v77, v25
	v_pk_add_f32 v[56:57], v[86:87], v[72:73]
	v_pk_add_f32 v[58:59], v[86:87], v[72:73] neg_lo:[0,1] neg_hi:[0,1]
	v_mov_b32_e32 v24, v52
	v_mov_b32_e32 v25, v54
	s_mov_b32 s22, s63
	s_mov_b32 s23, s62
	v_pk_add_f32 v[64:65], v[12:13], v[42:43]
	v_pk_fma_f32 v[42:43], v[160:161], s[66:67], v[44:45] op_sel:[0,0,1] op_sel_hi:[1,0,0]
	v_pk_fma_f32 v[44:45], v[160:161], s[66:67], v[44:45] op_sel:[0,0,1] op_sel_hi:[1,0,0] neg_lo:[0,0,1] neg_hi:[0,0,1]
	v_mov_b32_e32 v110, v55
	v_mov_b32_e32 v111, v53
	v_pk_mul_f32 v[112:113], v[24:25], s[22:23]
	v_mov_b32_e32 v24, v56
	v_mov_b32_e32 v25, v58
	s_mov_b32 s18, s53
	s_mov_b32 s19, s52
	v_mov_b32_e32 v68, v42
	v_mov_b32_e32 v69, v45
	v_pk_fma_f32 v[114:115], v[110:111], s[62:63], v[112:113] neg_lo:[1,0,0] neg_hi:[1,0,0]
	v_pk_fma_f32 v[116:117], v[110:111], s[62:63], v[112:113]
	v_mov_b32_e32 v118, v59
	v_mov_b32_e32 v119, v57
	v_pk_mul_f32 v[120:121], v[24:25], s[18:19]
	v_pk_add_f32 v[64:65], v[68:69], v[64:65]
	v_pk_fma_f32 v[68:69], v[110:111], s[62:63], v[112:113] neg_lo:[0,0,1] neg_hi:[0,0,1]
	s_mov_b32 s44, s25
	v_pk_mul_f32 v[8:9], v[54:55], s[24:25] op_sel_hi:[1,0]
	v_mov_b32_e32 v115, v117
	v_pk_fma_f32 v[88:89], v[118:119], s[52:53], v[120:121] neg_lo:[1,0,0] neg_hi:[1,0,0]
	v_pk_fma_f32 v[122:123], v[118:119], s[52:53], v[120:121]
	v_mov_b32_e32 v117, v69
	v_pk_fma_f32 v[70:71], v[118:119], s[52:53], v[120:121] neg_lo:[0,0,1] neg_hi:[0,0,1]
	v_pk_fma_f32 v[84:85], v[52:53], s[44:45], v[8:9] op_sel:[0,0,1] op_sel_hi:[1,0,0]
	v_pk_fma_f32 v[8:9], v[52:53], s[44:45], v[8:9] op_sel:[0,0,1] op_sel_hi:[1,0,0] neg_lo:[0,0,1] neg_hi:[0,0,1]
	v_mov_b32_e32 v89, v123
	v_pk_add_f32 v[68:69], v[116:117], v[92:93]
	v_mov_b32_e32 v123, v71
	v_accvgpr_write_b32 a19, v85
	v_mov_b32_e32 v85, v9
	v_mov_b32_e32 v165, v67
	;; [unrolled: 1-line block ×3, first 2 shown]
	v_pk_add_f32 v[68:69], v[122:123], v[68:69]
	v_pk_fma_f32 v[100:101], v[38:39], s[30:31], v[20:21]
	v_pk_fma_f32 v[20:21], v[38:39], s[30:31], v[20:21] neg_lo:[0,0,1] neg_hi:[0,0,1]
	v_pk_add_f32 v[64:65], v[84:85], v[64:65]
	v_pk_add_f32 v[66:67], v[66:67], v[68:69]
	s_mov_b32 s72, s63
	v_pk_mul_f32 v[84:85], v[158:159], s[62:63] op_sel_hi:[1,0]
	v_mov_b32_e32 v51, v101
	v_mov_b32_e32 v101, v21
	s_mov_b32 s38, s35
	v_pk_mul_f32 v[10:11], v[58:59], s[34:35] op_sel_hi:[1,0]
	s_mov_b32 s74, 0x3f06c442
	s_mov_b32 s75, s31
	v_pk_add_f32 v[66:67], v[76:77], v[66:67]
	v_pk_fma_f32 v[80:81], v[156:157], s[72:73], v[84:85] op_sel:[0,0,1] op_sel_hi:[1,0,0]
	v_pk_fma_f32 v[84:85], v[156:157], s[72:73], v[84:85] op_sel:[0,0,1] op_sel_hi:[1,0,0] neg_lo:[0,0,1] neg_hi:[0,0,1]
	v_pk_fma_f32 v[82:83], v[46:47], s[34:35], v[22:23]
	v_pk_fma_f32 v[20:21], v[46:47], s[34:35], v[22:23] neg_lo:[0,0,1] neg_hi:[0,0,1]
	v_pk_fma_f32 v[22:23], v[56:57], s[38:39], v[10:11] op_sel:[0,0,1] op_sel_hi:[1,0,0]
	v_pk_fma_f32 v[10:11], v[56:57], s[38:39], v[10:11] op_sel:[0,0,1] op_sel_hi:[1,0,0] neg_lo:[0,0,1] neg_hi:[0,0,1]
	v_pk_mul_f32 v[4:5], v[90:91], s[74:75]
	s_mov_b32 s26, s31
	s_mov_b32 s27, s74
	v_pk_add_f32 v[66:67], v[100:101], v[66:67]
	v_mov_b32_e32 v86, v80
	v_mov_b32_e32 v87, v85
	v_pk_mul_f32 v[100:101], v[162:163], s[24:25] op_sel_hi:[1,0]
	v_mov_b32_e32 v61, v83
	v_mov_b32_e32 v83, v21
	;; [unrolled: 1-line block ×4, first 2 shown]
	v_pk_mul_f32 v[24:25], v[36:37], s[58:59]
	s_mov_b32 s12, s59
	s_mov_b32 s13, s58
	;; [unrolled: 1-line block ×4, first 2 shown]
	v_pk_fma_f32 v[20:21], v[0:1], s[26:27], v[4:5]
	v_pk_fma_f32 v[94:95], v[0:1], s[26:27], v[4:5] neg_lo:[1,0,0] neg_hi:[1,0,0]
	v_pk_add_f32 v[98:99], v[12:13], v[86:87]
	v_pk_fma_f32 v[86:87], v[160:161], s[44:45], v[100:101] op_sel:[0,0,1] op_sel_hi:[1,0,0]
	v_pk_fma_f32 v[104:105], v[160:161], s[44:45], v[100:101] op_sel:[0,0,1] op_sel_hi:[1,0,0] neg_lo:[0,0,1] neg_hi:[0,0,1]
	v_pk_fma_f32 v[26:27], v[6:7], s[12:13], v[24:25]
	v_pk_fma_f32 v[124:125], v[6:7], s[12:13], v[24:25] neg_lo:[1,0,0] neg_hi:[1,0,0]
	v_pk_mul_f32 v[28:29], v[38:39], s[42:43]
	s_mov_b32 s14, s63
	s_mov_b32 s15, s42
	v_mov_b32_e32 v94, v20
	v_pk_add_f32 v[64:65], v[106:107], v[64:65]
	v_mov_b32_e32 v100, v86
	v_mov_b32_e32 v101, v105
	s_mov_b32 s50, 0x3e3c28d5
	v_mov_b32_e32 v124, v26
	v_pk_fma_f32 v[30:31], v[16:17], s[14:15], v[28:29]
	v_pk_fma_f32 v[128:129], v[16:17], s[14:15], v[28:29] neg_lo:[1,0,0] neg_hi:[1,0,0]
	v_pk_mul_f32 v[32:33], v[46:47], s[46:47]
	s_mov_b32 s20, s47
	s_mov_b32 s21, s46
	v_pk_add_f32 v[64:65], v[94:95], v[64:65]
	v_pk_add_f32 v[98:99], v[100:101], v[98:99]
	v_pk_mul_f32 v[100:101], v[54:55], s[50:51] op_sel_hi:[1,0]
	v_mov_b32_e32 v128, v30
	v_pk_fma_f32 v[34:35], v[18:19], s[20:21], v[32:33]
	v_pk_fma_f32 v[130:131], v[18:19], s[20:21], v[32:33] neg_lo:[1,0,0] neg_hi:[1,0,0]
	v_pk_add_f32 v[64:65], v[124:125], v[64:65]
	v_pk_add_f32 v[66:67], v[82:83], v[66:67]
	v_accvgpr_read_b32 v20, a11
	s_mov_b32 s64, 0x3f2c7751
	s_mov_b32 s65, s28
	v_pk_fma_f32 v[108:109], v[52:53], s[38:39], v[100:101] op_sel:[0,0,1] op_sel_hi:[1,0,0]
	v_pk_fma_f32 v[106:107], v[52:53], s[38:39], v[100:101] op_sel:[0,0,1] op_sel_hi:[1,0,0] neg_lo:[0,0,1] neg_hi:[0,0,1]
	s_mov_b32 s80, s59
	v_pk_mul_f32 v[110:111], v[58:59], s[58:59] op_sel_hi:[1,0]
	v_mov_b32_e32 v130, v34
	v_pk_add_f32 v[64:65], v[128:129], v[64:65]
	s_barrier
	ds_write2_b64 v20, v[62:63], v[66:67] offset1:34
	v_pk_mul_f32 v[62:63], v[90:91], s[64:65]
	s_mov_b32 s29, s64
	s_mov_b32 s57, s47
	v_mov_b32_e32 v100, v108
	v_mov_b32_e32 v101, v107
	v_pk_fma_f32 v[112:113], v[56:57], s[80:81], v[110:111] op_sel:[0,0,1] op_sel_hi:[1,0,0]
	v_pk_fma_f32 v[110:111], v[56:57], s[80:81], v[110:111] op_sel:[0,0,1] op_sel_hi:[1,0,0] neg_lo:[0,0,1] neg_hi:[0,0,1]
	v_pk_mul_f32 v[124:125], v[158:159], s[52:53] op_sel_hi:[1,0]
	v_pk_add_f32 v[74:75], v[130:131], v[64:65]
	v_pk_fma_f32 v[64:65], v[0:1], s[28:29], v[62:63]
	v_pk_fma_f32 v[82:83], v[0:1], s[28:29], v[62:63] neg_lo:[1,0,0] neg_hi:[1,0,0]
	v_pk_mul_f32 v[66:67], v[36:37], s[56:57]
	s_mov_b32 s40, s47
	s_mov_b32 s41, s56
	v_mov_b32_e32 v116, v112
	v_mov_b32_e32 v117, v111
	v_pk_add_f32 v[98:99], v[100:101], v[98:99]
	v_pk_fma_f32 v[140:141], v[156:157], s[66:67], v[124:125] op_sel:[0,0,1] op_sel_hi:[1,0,0]
	v_pk_fma_f32 v[142:143], v[156:157], s[66:67], v[124:125] op_sel:[0,0,1] op_sel_hi:[1,0,0] neg_lo:[0,0,1] neg_hi:[0,0,1]
	v_pk_mul_f32 v[128:129], v[162:163], s[34:35] op_sel_hi:[1,0]
	v_mov_b32_e32 v82, v64
	v_pk_fma_f32 v[68:69], v[6:7], s[40:41], v[66:67]
	v_pk_fma_f32 v[92:93], v[6:7], s[40:41], v[66:67] neg_lo:[1,0,0] neg_hi:[1,0,0]
	v_pk_mul_f32 v[72:73], v[38:39], s[52:53]
	v_pk_add_f32 v[98:99], v[116:117], v[98:99]
	v_mov_b32_e32 v124, v140
	v_mov_b32_e32 v125, v143
	v_pk_fma_f32 v[144:145], v[160:161], s[38:39], v[128:129] op_sel:[0,0,1] op_sel_hi:[1,0,0]
	v_pk_fma_f32 v[146:147], v[160:161], s[38:39], v[128:129] op_sel:[0,0,1] op_sel_hi:[1,0,0] neg_lo:[0,0,1] neg_hi:[0,0,1]
	v_mov_b32_e32 v92, v68
	v_pk_fma_f32 v[70:71], v[16:17], s[18:19], v[72:73]
	v_pk_fma_f32 v[94:95], v[16:17], s[18:19], v[72:73] neg_lo:[1,0,0] neg_hi:[1,0,0]
	v_pk_mul_f32 v[78:79], v[46:47], s[30:31]
	v_pk_add_f32 v[82:83], v[82:83], v[98:99]
	v_pk_add_f32 v[124:125], v[12:13], v[124:125]
	v_mov_b32_e32 v128, v144
	v_mov_b32_e32 v129, v147
	;; [unrolled: 1-line block ×3, first 2 shown]
	v_pk_fma_f32 v[76:77], v[18:19], s[8:9], v[78:79]
	v_pk_fma_f32 v[96:97], v[18:19], s[8:9], v[78:79] neg_lo:[1,0,0] neg_hi:[1,0,0]
	v_pk_add_f32 v[82:83], v[92:93], v[82:83]
	v_pk_add_f32 v[124:125], v[128:129], v[124:125]
	v_pk_mul_f32 v[128:129], v[54:55], s[58:59] op_sel_hi:[1,0]
	v_mov_b32_e32 v96, v76
	v_pk_add_f32 v[82:83], v[94:95], v[82:83]
	v_pk_fma_f32 v[150:151], v[52:53], s[80:81], v[128:129] op_sel:[0,0,1] op_sel_hi:[1,0,0]
	v_pk_fma_f32 v[148:149], v[52:53], s[80:81], v[128:129] op_sel:[0,0,1] op_sel_hi:[1,0,0] neg_lo:[0,0,1] neg_hi:[0,0,1]
	v_pk_mul_f32 v[130:131], v[58:59], s[46:47] op_sel_hi:[1,0]
	v_pk_add_f32 v[82:83], v[96:97], v[82:83]
	v_pk_mul_f32 v[94:95], v[90:91], s[62:63]
	v_mov_b32_e32 v128, v150
	v_mov_b32_e32 v129, v149
	v_pk_fma_f32 v[154:155], v[56:57], s[54:55], v[130:131] op_sel:[0,0,1] op_sel_hi:[1,0,0]
	v_pk_fma_f32 v[152:153], v[56:57], s[54:55], v[130:131] op_sel:[0,0,1] op_sel_hi:[1,0,0] neg_lo:[0,0,1] neg_hi:[0,0,1]
	ds_write2_b64 v20, v[74:75], v[82:83] offset0:68 offset1:102
	v_pk_fma_f32 v[92:93], v[0:1], s[22:23], v[94:95]
	v_pk_fma_f32 v[74:75], v[0:1], s[22:23], v[94:95] neg_lo:[1,0,0] neg_hi:[1,0,0]
	v_pk_mul_f32 v[98:99], v[36:37], s[30:31]
	s_mov_b32 s76, 0x3f4c4adb
	s_mov_b32 s77, s25
	v_mov_b32_e32 v130, v154
	v_mov_b32_e32 v131, v153
	v_pk_add_f32 v[124:125], v[128:129], v[124:125]
	v_mov_b32_e32 v74, v92
	v_pk_fma_f32 v[96:97], v[6:7], s[8:9], v[98:99]
	v_pk_fma_f32 v[82:83], v[6:7], s[8:9], v[98:99] neg_lo:[1,0,0] neg_hi:[1,0,0]
	v_pk_mul_f32 v[100:101], v[38:39], s[76:77]
	s_mov_b32 s50, s25
	s_mov_b32 s51, s76
	v_pk_add_f32 v[124:125], v[130:131], v[124:125]
	v_mov_b32_e32 v82, v96
	v_pk_fma_f32 v[116:117], v[16:17], s[50:51], v[100:101]
	v_pk_fma_f32 v[120:121], v[16:17], s[50:51], v[100:101] neg_lo:[1,0,0] neg_hi:[1,0,0]
	v_pk_mul_f32 v[138:139], v[46:47], s[64:65]
	v_pk_add_f32 v[74:75], v[74:75], v[124:125]
	v_mov_b32_e32 v120, v116
	v_pk_fma_f32 v[118:119], v[18:19], s[28:29], v[138:139]
	v_pk_fma_f32 v[122:123], v[18:19], s[28:29], v[138:139] neg_lo:[1,0,0] neg_hi:[1,0,0]
	v_pk_add_f32 v[74:75], v[82:83], v[74:75]
	v_mov_b32_e32 v122, v118
	v_pk_add_f32 v[74:75], v[120:121], v[74:75]
	s_mov_b32 s78, s31
	v_pk_add_f32 v[120:121], v[122:123], v[74:75]
	v_pk_mul_f32 v[74:75], v[158:159], s[48:49] op_sel_hi:[1,0]
	v_pk_mul_f32 v[132:133], v[162:163], s[74:75] op_sel_hi:[1,0]
	v_pk_fma_f32 v[190:191], v[156:157], s[80:81], v[74:75] op_sel:[0,0,1] op_sel_hi:[1,0,0]
	v_pk_fma_f32 v[192:193], v[156:157], s[80:81], v[74:75] op_sel:[0,0,1] op_sel_hi:[1,0,0] neg_lo:[0,0,1] neg_hi:[0,0,1]
	v_mov_b32_e32 v74, v190
	v_mov_b32_e32 v75, v193
	v_pk_fma_f32 v[82:83], v[160:161], s[78:79], v[132:133] op_sel:[0,0,1] op_sel_hi:[1,0,0]
	v_pk_fma_f32 v[194:195], v[160:161], s[78:79], v[132:133] op_sel:[0,0,1] op_sel_hi:[1,0,0] neg_lo:[0,0,1] neg_hi:[0,0,1]
	v_pk_add_f32 v[74:75], v[12:13], v[74:75]
	v_mov_b32_e32 v132, v82
	v_mov_b32_e32 v133, v195
	v_pk_add_f32 v[132:133], v[132:133], v[74:75]
	v_pk_mul_f32 v[74:75], v[54:55], s[64:65] op_sel_hi:[1,0]
	v_pk_mul_f32 v[136:137], v[58:59], s[62:63] op_sel_hi:[1,0]
	v_pk_fma_f32 v[196:197], v[52:53], s[28:29], v[74:75] op_sel:[0,0,1] op_sel_hi:[1,0,0]
	v_pk_fma_f32 v[74:75], v[52:53], s[28:29], v[74:75] op_sel:[0,0,1] op_sel_hi:[1,0,0] neg_lo:[0,0,1] neg_hi:[0,0,1]
	v_mov_b32_e32 v134, v196
	v_mov_b32_e32 v135, v75
	v_pk_fma_f32 v[200:201], v[56:57], s[72:73], v[136:137] op_sel:[0,0,1] op_sel_hi:[1,0,0]
	v_pk_fma_f32 v[198:199], v[56:57], s[72:73], v[136:137] op_sel:[0,0,1] op_sel_hi:[1,0,0] neg_lo:[0,0,1] neg_hi:[0,0,1]
	v_pk_mul_f32 v[176:177], v[90:91], s[34:35]
	s_mov_b32 s70, 0x3f7ee86f
	s_mov_b32 s71, s53
	v_mov_b32_e32 v136, v200
	v_mov_b32_e32 v137, v199
	v_pk_add_f32 v[132:133], v[134:135], v[132:133]
	v_pk_fma_f32 v[174:175], v[0:1], s[16:17], v[176:177]
	v_pk_fma_f32 v[122:123], v[0:1], s[16:17], v[176:177] neg_lo:[1,0,0] neg_hi:[1,0,0]
	v_pk_mul_f32 v[178:179], v[36:37], s[70:71]
	s_mov_b32 s60, s53
	s_mov_b32 s61, s70
	v_pk_add_f32 v[132:133], v[136:137], v[132:133]
	v_pk_mul_f32 v[136:137], v[158:159], s[24:25] op_sel_hi:[1,0]
	v_mov_b32_e32 v122, v174
	v_pk_fma_f32 v[180:181], v[6:7], s[60:61], v[178:179]
	v_pk_fma_f32 v[124:125], v[6:7], s[60:61], v[178:179] neg_lo:[1,0,0] neg_hi:[1,0,0]
	v_pk_mul_f32 v[184:185], v[38:39], s[56:57]
	v_pk_fma_f32 v[216:217], v[156:157], s[44:45], v[136:137] op_sel:[0,0,1] op_sel_hi:[1,0,0]
	v_pk_fma_f32 v[218:219], v[156:157], s[44:45], v[136:137] op_sel:[0,0,1] op_sel_hi:[1,0,0] neg_lo:[0,0,1] neg_hi:[0,0,1]
	v_pk_mul_f32 v[208:209], v[162:163], s[58:59] op_sel_hi:[1,0]
	v_mov_b32_e32 v124, v180
	v_pk_fma_f32 v[182:183], v[16:17], s[40:41], v[184:185]
	v_pk_fma_f32 v[128:129], v[16:17], s[40:41], v[184:185] neg_lo:[1,0,0] neg_hi:[1,0,0]
	v_pk_mul_f32 v[188:189], v[46:47], s[24:25]
	v_pk_add_f32 v[122:123], v[122:123], v[132:133]
	v_mov_b32_e32 v136, v216
	v_mov_b32_e32 v137, v219
	v_pk_fma_f32 v[220:221], v[160:161], s[80:81], v[208:209] op_sel:[0,0,1] op_sel_hi:[1,0,0]
	v_pk_fma_f32 v[222:223], v[160:161], s[80:81], v[208:209] op_sel:[0,0,1] op_sel_hi:[1,0,0] neg_lo:[0,0,1] neg_hi:[0,0,1]
	v_mov_b32_e32 v128, v182
	v_pk_fma_f32 v[186:187], v[18:19], s[10:11], v[188:189]
	v_pk_fma_f32 v[130:131], v[18:19], s[10:11], v[188:189] neg_lo:[1,0,0] neg_hi:[1,0,0]
	v_pk_add_f32 v[122:123], v[124:125], v[122:123]
	v_pk_add_f32 v[136:137], v[12:13], v[136:137]
	v_mov_b32_e32 v208, v220
	v_mov_b32_e32 v209, v223
	;; [unrolled: 1-line block ×3, first 2 shown]
	v_pk_add_f32 v[122:123], v[128:129], v[122:123]
	v_pk_add_f32 v[136:137], v[208:209], v[136:137]
	v_pk_mul_f32 v[208:209], v[54:55], s[56:57] op_sel_hi:[1,0]
	v_pk_add_f32 v[122:123], v[130:131], v[122:123]
	v_pk_fma_f32 v[226:227], v[52:53], s[54:55], v[208:209] op_sel:[0,0,1] op_sel_hi:[1,0,0]
	v_pk_fma_f32 v[224:225], v[52:53], s[54:55], v[208:209] op_sel:[0,0,1] op_sel_hi:[1,0,0] neg_lo:[0,0,1] neg_hi:[0,0,1]
	v_pk_mul_f32 v[228:229], v[58:59], s[30:31] op_sel_hi:[1,0]
	ds_write2_b64 v20, v[120:121], v[122:123] offset0:136 offset1:170
	v_pk_mul_f32 v[122:123], v[90:91], s[70:71]
	s_mov_b32 s69, s28
	v_mov_b32_e32 v208, v226
	v_mov_b32_e32 v209, v225
	v_pk_fma_f32 v[230:231], v[56:57], s[78:79], v[228:229] op_sel:[0,0,1] op_sel_hi:[1,0,0]
	v_pk_fma_f32 v[228:229], v[56:57], s[78:79], v[228:229] op_sel:[0,0,1] op_sel_hi:[1,0,0] neg_lo:[0,0,1] neg_hi:[0,0,1]
	v_pk_fma_f32 v[120:121], v[0:1], s[60:61], v[122:123]
	v_pk_fma_f32 v[128:129], v[0:1], s[60:61], v[122:123] neg_lo:[1,0,0] neg_hi:[1,0,0]
	v_pk_mul_f32 v[124:125], v[36:37], s[68:69]
	s_mov_b32 s62, s28
	s_mov_b32 s63, s68
	v_mov_b32_e32 v232, v230
	v_mov_b32_e32 v233, v229
	v_pk_add_f32 v[136:137], v[208:209], v[136:137]
	v_mov_b32_e32 v128, v120
	v_pk_fma_f32 v[202:203], v[6:7], s[62:63], v[124:125]
	v_pk_fma_f32 v[130:131], v[6:7], s[62:63], v[124:125] neg_lo:[1,0,0] neg_hi:[1,0,0]
	v_pk_mul_f32 v[210:211], v[38:39], s[34:35]
	v_pk_add_f32 v[136:137], v[232:233], v[136:137]
	v_mov_b32_e32 v130, v202
	v_pk_fma_f32 v[206:207], v[16:17], s[16:17], v[210:211]
	v_pk_fma_f32 v[132:133], v[16:17], s[16:17], v[210:211] neg_lo:[1,0,0] neg_hi:[1,0,0]
	v_pk_mul_f32 v[214:215], v[46:47], s[42:43]
	v_pk_add_f32 v[128:129], v[128:129], v[136:137]
	v_mov_b32_e32 v132, v206
	v_pk_fma_f32 v[212:213], v[18:19], s[14:15], v[214:215]
	v_pk_fma_f32 v[134:135], v[18:19], s[14:15], v[214:215] neg_lo:[1,0,0] neg_hi:[1,0,0]
	v_pk_add_f32 v[128:129], v[130:131], v[128:129]
	v_pk_mul_f32 v[130:131], v[158:159], s[30:31] op_sel_hi:[1,0]
	v_mov_b32_e32 v134, v212
	v_pk_add_f32 v[128:129], v[132:133], v[128:129]
	v_pk_fma_f32 v[132:133], v[156:157], s[78:79], v[130:131] op_sel:[0,0,1] op_sel_hi:[1,0,0]
	v_pk_fma_f32 v[130:131], v[156:157], s[78:79], v[130:131] op_sel:[0,0,1] op_sel_hi:[1,0,0] neg_lo:[0,0,1] neg_hi:[0,0,1]
	v_pk_mul_f32 v[136:137], v[162:163], s[42:43] op_sel_hi:[1,0]
	v_pk_add_f32 v[128:129], v[134:135], v[128:129]
	v_mov_b32_e32 v134, v132
	v_mov_b32_e32 v135, v131
	v_pk_fma_f32 v[208:209], v[160:161], s[72:73], v[136:137] op_sel:[0,0,1] op_sel_hi:[1,0,0]
	v_pk_fma_f32 v[136:137], v[160:161], s[72:73], v[136:137] op_sel:[0,0,1] op_sel_hi:[1,0,0] neg_lo:[0,0,1] neg_hi:[0,0,1]
	v_pk_add_f32 v[134:135], v[12:13], v[134:135]
	v_mov_b32_e32 v232, v208
	v_mov_b32_e32 v233, v137
	v_pk_add_f32 v[134:135], v[232:233], v[134:135]
	v_pk_mul_f32 v[232:233], v[54:55], s[52:53] op_sel_hi:[1,0]
	v_mov_b32_e32 v167, v169
	v_pk_fma_f32 v[234:235], v[52:53], s[66:67], v[232:233] op_sel:[0,0,1] op_sel_hi:[1,0,0]
	v_pk_fma_f32 v[232:233], v[52:53], s[66:67], v[232:233] op_sel:[0,0,1] op_sel_hi:[1,0,0] neg_lo:[0,0,1] neg_hi:[0,0,1]
	v_mov_b32_e32 v236, v234
	v_mov_b32_e32 v237, v233
	v_pk_add_f32 v[134:135], v[236:237], v[134:135]
	v_pk_mul_f32 v[236:237], v[58:59], s[76:77] op_sel_hi:[1,0]
	v_mov_b32_e32 v171, v173
	v_pk_fma_f32 v[238:239], v[56:57], s[44:45], v[236:237] op_sel:[0,0,1] op_sel_hi:[1,0,0]
	v_pk_fma_f32 v[236:237], v[56:57], s[44:45], v[236:237] op_sel:[0,0,1] op_sel_hi:[1,0,0] neg_lo:[0,0,1] neg_hi:[0,0,1]
	v_mov_b32_e32 v240, v238
	v_mov_b32_e32 v241, v237
	v_pk_add_f32 v[134:135], v[240:241], v[134:135]
	v_pk_mul_f32 v[240:241], v[90:91], s[56:57]
	v_pk_mul_f32 v[54:55], v[54:55], s[30:31] op_sel_hi:[1,0]
	v_pk_fma_f32 v[242:243], v[0:1], s[40:41], v[240:241]
	v_pk_fma_f32 v[244:245], v[0:1], s[40:41], v[240:241] neg_lo:[1,0,0] neg_hi:[1,0,0]
	v_mov_b32_e32 v131, v133
	v_mov_b32_e32 v244, v242
	v_pk_add_f32 v[134:135], v[244:245], v[134:135]
	v_pk_mul_f32 v[244:245], v[36:37], s[34:35]
	v_pk_mul_f32 v[36:37], v[36:37], s[42:43]
	v_pk_fma_f32 v[246:247], v[6:7], s[16:17], v[244:245]
	v_pk_fma_f32 v[248:249], v[6:7], s[16:17], v[244:245] neg_lo:[1,0,0] neg_hi:[1,0,0]
	v_mov_b32_e32 v137, v209
	v_mov_b32_e32 v248, v246
	v_pk_add_f32 v[134:135], v[248:249], v[134:135]
	v_pk_mul_f32 v[248:249], v[38:39], s[64:65]
	v_pk_mul_f32 v[38:39], v[38:39], s[48:49]
	v_pk_fma_f32 v[250:251], v[16:17], s[28:29], v[248:249]
	v_pk_fma_f32 v[252:253], v[16:17], s[28:29], v[248:249] neg_lo:[1,0,0] neg_hi:[1,0,0]
	v_add_u32_e32 v14, 0x800, v20
	v_mov_b32_e32 v252, v250
	v_pk_add_f32 v[134:135], v[252:253], v[134:135]
	v_pk_mul_f32 v[252:253], v[46:47], s[48:49]
	v_pk_mul_f32 v[46:47], v[46:47], s[70:71]
	v_pk_fma_f32 v[2:3], v[18:19], s[36:37], v[252:253]
	v_pk_fma_f32 v[254:255], v[18:19], s[36:37], v[252:253] neg_lo:[1,0,0] neg_hi:[1,0,0]
	v_mov_b32_e32 v233, v235
	v_mov_b32_e32 v254, v2
	v_pk_add_f32 v[134:135], v[254:255], v[134:135]
	ds_write2_b64 v20, v[128:129], v[134:135] offset0:204 offset1:238
	v_pk_add_f32 v[128:129], v[12:13], v[166:167]
	v_pk_fma_f32 v[166:167], v[6:7], s[14:15], v[36:37] neg_lo:[0,0,1] neg_hi:[0,0,1]
	v_pk_add_f32 v[128:129], v[170:171], v[128:129]
	v_mov_b32_e32 v219, v217
	v_pk_add_f32 v[114:115], v[114:115], v[128:129]
	v_mov_b32_e32 v237, v239
	;; [unrolled: 2-line block ×4, first 2 shown]
	v_pk_add_f32 v[48:49], v[48:49], v[88:89]
	v_pk_mul_f32 v[88:89], v[162:163], s[46:47] op_sel_hi:[1,0]
	v_pk_add_f32 v[48:49], v[50:51], v[48:49]
	v_pk_mul_f32 v[50:51], v[158:159], s[34:35] op_sel_hi:[1,0]
	v_pk_add_f32 v[48:49], v[60:61], v[48:49]
	v_pk_fma_f32 v[60:61], v[156:157], s[38:39], v[50:51] op_sel:[0,0,1] op_sel_hi:[1,0,0]
	v_pk_fma_f32 v[50:51], v[156:157], s[38:39], v[50:51] op_sel:[0,0,1] op_sel_hi:[1,0,0] neg_lo:[0,0,1] neg_hi:[0,0,1]
	v_pk_fma_f32 v[114:115], v[160:161], s[54:55], v[88:89] op_sel:[0,0,1] op_sel_hi:[1,0,0]
	v_pk_fma_f32 v[88:89], v[160:161], s[54:55], v[88:89] op_sel:[0,0,1] op_sel_hi:[1,0,0] neg_lo:[0,0,1] neg_hi:[0,0,1]
	v_mov_b32_e32 v128, v60
	v_mov_b32_e32 v129, v51
	v_pk_add_f32 v[128:129], v[12:13], v[128:129]
	v_mov_b32_e32 v134, v114
	v_mov_b32_e32 v135, v89
	v_pk_add_f32 v[128:129], v[134:135], v[128:129]
	v_pk_fma_f32 v[134:135], v[52:53], s[78:79], v[54:55] op_sel:[0,0,1] op_sel_hi:[1,0,0]
	v_pk_fma_f32 v[156:157], v[52:53], s[78:79], v[54:55] op_sel:[0,0,1] op_sel_hi:[1,0,0] neg_lo:[0,0,1] neg_hi:[0,0,1]
	v_pk_mul_f32 v[52:53], v[58:59], s[64:65] op_sel_hi:[1,0]
	v_pk_fma_f32 v[160:161], v[16:17], s[36:37], v[38:39] neg_lo:[1,0,0] neg_hi:[1,0,0]
	v_pk_fma_f32 v[58:59], v[56:57], s[28:29], v[52:53] op_sel:[0,0,1] op_sel_hi:[1,0,0]
	v_pk_fma_f32 v[158:159], v[56:57], s[28:29], v[52:53] op_sel:[0,0,1] op_sel_hi:[1,0,0] neg_lo:[0,0,1] neg_hi:[0,0,1]
	v_mov_b32_e32 v52, v134
	v_mov_b32_e32 v53, v157
	v_pk_add_f32 v[52:53], v[52:53], v[128:129]
	v_mov_b32_e32 v54, v58
	v_mov_b32_e32 v55, v159
	v_pk_add_f32 v[52:53], v[54:55], v[52:53]
	v_pk_mul_f32 v[54:55], v[90:91], s[24:25]
	v_pk_fma_f32 v[128:129], v[6:7], s[14:15], v[36:37] neg_lo:[1,0,0] neg_hi:[1,0,0]
	v_pk_fma_f32 v[56:57], v[0:1], s[10:11], v[54:55]
	v_pk_fma_f32 v[90:91], v[0:1], s[10:11], v[54:55] neg_lo:[1,0,0] neg_hi:[1,0,0]
	v_pk_fma_f32 v[164:165], v[0:1], s[10:11], v[54:55] neg_lo:[0,0,1] neg_hi:[0,0,1]
	v_mov_b32_e32 v90, v56
	v_pk_add_f32 v[52:53], v[90:91], v[52:53]
	v_pk_fma_f32 v[90:91], v[6:7], s[14:15], v[36:37]
	v_pk_fma_f32 v[162:163], v[18:19], s[60:61], v[46:47] neg_lo:[1,0,0] neg_hi:[1,0,0]
	v_mov_b32_e32 v128, v90
	v_pk_add_f32 v[52:53], v[128:129], v[52:53]
	v_pk_fma_f32 v[128:129], v[16:17], s[36:37], v[38:39]
	v_mov_b32_e32 v167, v91
	v_pk_fma_f32 v[90:91], v[16:17], s[36:37], v[38:39] neg_lo:[0,0,1] neg_hi:[0,0,1]
	v_accvgpr_read_b32 v38, a80
	v_accvgpr_read_b32 v39, a81
	v_mov_b32_e32 v160, v128
	v_mov_b32_e32 v54, v38
	;; [unrolled: 1-line block ×4, first 2 shown]
	v_pk_add_f32 v[52:53], v[160:161], v[52:53]
	v_pk_fma_f32 v[160:161], v[18:19], s[60:61], v[46:47]
	v_mov_b64_e32 v[172:173], v[38:39]
	v_accvgpr_read_b32 v38, a78
	v_mov_b32_e32 v162, v160
	v_accvgpr_read_b32 v39, a79
	v_pk_add_f32 v[162:163], v[162:163], v[52:53]
	v_accvgpr_read_b32 v36, a82
	v_mov_b32_e32 v52, v38
	v_mov_b32_e32 v53, v38
	;; [unrolled: 1-line block ×3, first 2 shown]
	v_accvgpr_read_b32 v37, a83
	v_mov_b64_e32 v[170:171], v[38:39]
	v_accvgpr_read_b32 v38, a76
	v_mov_b32_e32 v165, v57
	v_mov_b32_e32 v51, v61
	;; [unrolled: 1-line block ×5, first 2 shown]
	v_accvgpr_read_b32 v39, a77
	v_mov_b64_e32 v[254:255], v[36:37]
	v_pk_add_f32 v[36:37], v[12:13], v[50:51]
	v_mov_b32_e32 v50, v38
	v_mov_b32_e32 v51, v38
	;; [unrolled: 1-line block ×4, first 2 shown]
	v_mov_b64_e32 v[168:169], v[38:39]
	v_accvgpr_read_b32 v38, a74
	v_pk_add_f32 v[36:37], v[88:89], v[36:37]
	v_mov_b32_e32 v157, v135
	v_mov_b32_e32 v159, v59
	v_accvgpr_read_b32 v39, a75
	v_accvgpr_read_b32 v58, a72
	v_mov_b32_e32 v91, v129
	v_pk_fma_f32 v[128:129], v[18:19], s[60:61], v[46:47] neg_lo:[0,0,1] neg_hi:[0,0,1]
	v_pk_add_f32 v[36:37], v[156:157], v[36:37]
	v_mov_b32_e32 v46, v38
	v_mov_b32_e32 v47, v38
	v_mov_b32_e32 v38, v39
	v_accvgpr_read_b32 v59, a73
	v_mov_b32_e32 v129, v161
	v_mov_b64_e32 v[160:161], v[38:39]
	v_pk_add_f32 v[36:37], v[158:159], v[36:37]
	v_mov_b32_e32 v38, v58
	v_mov_b32_e32 v39, v58
	v_mov_b32_e32 v58, v59
	v_mov_b64_e32 v[156:157], v[58:59]
	v_pk_add_f32 v[58:59], v[164:165], v[36:37]
	v_accvgpr_read_b32 v60, a70
	v_pk_add_f32 v[58:59], v[166:167], v[58:59]
	v_accvgpr_read_b32 v61, a71
	v_pk_add_f32 v[58:59], v[90:91], v[58:59]
	v_pk_fma_f32 v[90:91], v[18:19], s[36:37], v[252:253] neg_lo:[0,0,1] neg_hi:[0,0,1]
	v_pk_add_f32 v[58:59], v[128:129], v[58:59]
	v_mov_b32_e32 v91, v3
	v_pk_add_f32 v[2:3], v[12:13], v[130:131]
	v_mov_b32_e32 v36, v60
	;; [unrolled: 2-line block ×3, first 2 shown]
	v_mov_b32_e32 v60, v61
	ds_write2_b64 v14, v[162:163], v[58:59] offset0:16 offset1:50
	v_pk_fma_f32 v[58:59], v[0:1], s[40:41], v[240:241] neg_lo:[0,0,1] neg_hi:[0,0,1]
	v_pk_add_f32 v[2:3], v[232:233], v[2:3]
	v_pk_add_f32 v[114:115], v[12:13], v[218:219]
	v_mov_b64_e32 v[134:135], v[60:61]
	v_mov_b32_e32 v59, v243
	v_pk_fma_f32 v[60:61], v[6:7], s[16:17], v[244:245] neg_lo:[0,0,1] neg_hi:[0,0,1]
	v_pk_add_f32 v[2:3], v[236:237], v[2:3]
	v_pk_add_f32 v[114:115], v[222:223], v[114:115]
	v_mov_b32_e32 v61, v247
	v_pk_fma_f32 v[88:89], v[16:17], s[28:29], v[248:249] neg_lo:[0,0,1] neg_hi:[0,0,1]
	v_pk_add_f32 v[2:3], v[58:59], v[2:3]
	v_pk_fma_f32 v[58:59], v[0:1], s[60:61], v[122:123] neg_lo:[0,0,1] neg_hi:[0,0,1]
	v_mov_b32_e32 v229, v231
	v_pk_add_f32 v[114:115], v[224:225], v[114:115]
	v_mov_b32_e32 v89, v251
	v_pk_add_f32 v[2:3], v[60:61], v[2:3]
	v_mov_b32_e32 v59, v121
	v_pk_fma_f32 v[60:61], v[6:7], s[62:63], v[124:125] neg_lo:[0,0,1] neg_hi:[0,0,1]
	v_pk_add_f32 v[114:115], v[228:229], v[114:115]
	v_pk_add_f32 v[2:3], v[88:89], v[2:3]
	v_mov_b32_e32 v61, v203
	v_pk_fma_f32 v[88:89], v[16:17], s[16:17], v[210:211] neg_lo:[0,0,1] neg_hi:[0,0,1]
	v_pk_add_f32 v[58:59], v[58:59], v[114:115]
	;; [unrolled: 4-line block ×3, first 2 shown]
	v_mov_b32_e32 v91, v213
	v_pk_add_f32 v[58:59], v[88:89], v[58:59]
	v_mov_b32_e32 v193, v191
	v_pk_add_f32 v[58:59], v[90:91], v[58:59]
	v_pk_add_f32 v[90:91], v[12:13], v[192:193]
	v_mov_b32_e32 v195, v83
	v_pk_add_f32 v[82:83], v[194:195], v[90:91]
	v_mov_b32_e32 v75, v197
	ds_write2_b64 v14, v[2:3], v[58:59] offset0:84 offset1:118
	v_pk_fma_f32 v[2:3], v[0:1], s[16:17], v[176:177] neg_lo:[0,0,1] neg_hi:[0,0,1]
	v_mov_b32_e32 v199, v201
	v_pk_add_f32 v[74:75], v[74:75], v[82:83]
	v_mov_b32_e32 v3, v175
	v_pk_fma_f32 v[58:59], v[6:7], s[60:61], v[178:179] neg_lo:[0,0,1] neg_hi:[0,0,1]
	v_pk_add_f32 v[74:75], v[198:199], v[74:75]
	v_mov_b32_e32 v59, v181
	v_pk_fma_f32 v[60:61], v[16:17], s[40:41], v[184:185] neg_lo:[0,0,1] neg_hi:[0,0,1]
	;; [unrolled: 3-line block ×3, first 2 shown]
	v_pk_add_f32 v[2:3], v[58:59], v[2:3]
	v_mov_b32_e32 v89, v187
	v_pk_add_f32 v[2:3], v[60:61], v[2:3]
	v_mov_b32_e32 v143, v141
	v_pk_add_f32 v[2:3], v[88:89], v[2:3]
	v_pk_add_f32 v[88:89], v[12:13], v[142:143]
	v_mov_b32_e32 v147, v145
	v_pk_add_f32 v[88:89], v[146:147], v[88:89]
	v_mov_b32_e32 v149, v151
	v_pk_fma_f32 v[58:59], v[0:1], s[22:23], v[94:95] neg_lo:[0,0,1] neg_hi:[0,0,1]
	v_mov_b32_e32 v153, v155
	v_pk_add_f32 v[88:89], v[148:149], v[88:89]
	v_mov_b32_e32 v59, v93
	v_pk_fma_f32 v[60:61], v[6:7], s[8:9], v[98:99] neg_lo:[0,0,1] neg_hi:[0,0,1]
	v_pk_add_f32 v[88:89], v[152:153], v[88:89]
	v_mov_b32_e32 v61, v97
	v_pk_fma_f32 v[74:75], v[16:17], s[50:51], v[100:101] neg_lo:[0,0,1] neg_hi:[0,0,1]
	;; [unrolled: 3-line block ×3, first 2 shown]
	v_pk_add_f32 v[58:59], v[60:61], v[58:59]
	v_mov_b32_e32 v83, v119
	v_pk_add_f32 v[58:59], v[74:75], v[58:59]
	v_mov_b32_e32 v85, v81
	v_pk_add_f32 v[58:59], v[82:83], v[58:59]
	ds_write2_b64 v14, v[2:3], v[58:59] offset0:152 offset1:186
	v_pk_fma_f32 v[2:3], v[0:1], s[28:29], v[62:63] neg_lo:[0,0,1] neg_hi:[0,0,1]
	v_mov_b32_e32 v41, v15
	v_mov_b32_e32 v3, v65
	v_pk_add_f32 v[64:65], v[12:13], v[84:85]
	v_mov_b32_e32 v105, v87
	v_pk_add_f32 v[12:13], v[12:13], v[40:41]
	;; [unrolled: 2-line block ×3, first 2 shown]
	v_mov_b32_e32 v107, v109
	v_accvgpr_read_b32 v9, a19
	v_pk_add_f32 v[12:13], v[44:45], v[12:13]
	v_mov_b32_e32 v111, v113
	v_pk_add_f32 v[64:65], v[106:107], v[64:65]
	v_mov_b32_e32 v11, v23
	v_pk_fma_f32 v[0:1], v[0:1], s[26:27], v[4:5] neg_lo:[0,0,1] neg_hi:[0,0,1]
	v_pk_add_f32 v[8:9], v[8:9], v[12:13]
	v_pk_fma_f32 v[58:59], v[6:7], s[40:41], v[66:67] neg_lo:[0,0,1] neg_hi:[0,0,1]
	v_pk_add_f32 v[64:65], v[110:111], v[64:65]
	v_mov_b32_e32 v1, v21
	v_pk_fma_f32 v[4:5], v[6:7], s[12:13], v[24:25] neg_lo:[0,0,1] neg_hi:[0,0,1]
	v_pk_add_f32 v[8:9], v[10:11], v[8:9]
	v_mov_b32_e32 v59, v69
	;; [unrolled: 3-line block ×6, first 2 shown]
	v_pk_add_f32 v[2:3], v[60:61], v[2:3]
	v_mov_b32_e32 v17, v35
	v_pk_add_f32 v[0:1], v[6:7], v[0:1]
	v_pk_add_f32 v[2:3], v[62:63], v[2:3]
	v_pk_add_f32 v[0:1], v[16:17], v[0:1]
	ds_write2_b64 v14, v[2:3], v[0:1] offset0:220 offset1:254
	ds_write_b64 v20, v[48:49] offset:4352
	v_add_u32_e32 v0, 0x1400, v205
	s_waitcnt lgkmcnt(0)
	s_barrier
	ds_read2_b64 v[24:27], v205 offset1:68
	ds_read2_b64 v[28:31], v127 offset0:66 offset1:134
	ds_read2_b64 v[16:19], v205 offset0:136 offset1:204
	;; [unrolled: 1-line block ×6, first 2 shown]
	v_add_u32_e32 v4, 0x1c00, v205
	ds_read2_b64 v[4:7], v4 offset0:90 offset1:158
	v_accvgpr_read_b32 v66, a84
	v_accvgpr_read_b32 v67, a85
	v_add_u32_e32 v34, 0xcc0, v205
	v_mov_b32_e32 v32, v66
	v_mov_b32_e32 v33, v66
	;; [unrolled: 1-line block ×3, first 2 shown]
	v_add_u32_e32 v35, 0xee0, v205
	s_and_saveexec_b64 s[8:9], s[0:1]
	s_cbranch_execz .LBB0_15
; %bb.14:
	ds_read_b64 v[48:49], v205 offset:4352
	ds_read_b64 v[102:103], v205 offset:8976
.LBB0_15:
	s_or_b64 exec, exec, s[8:9]
	s_waitcnt lgkmcnt(6)
	v_pk_mul_f32 v[40:41], v[254:255], v[28:29]
	v_pk_mul_f32 v[42:43], v[172:173], v[30:31]
	v_pk_fma_f32 v[68:69], v[56:57], v[28:29], v[40:41] op_sel:[0,0,1] op_sel_hi:[1,1,0]
	v_pk_fma_f32 v[28:29], v[56:57], v[28:29], v[40:41] op_sel:[0,0,1] op_sel_hi:[1,1,0] neg_lo:[0,0,1] neg_hi:[0,0,1]
	v_accvgpr_read_b32 v40, a68
	v_mov_b32_e32 v69, v29
	v_pk_add_f32 v[28:29], v[24:25], v[68:69] neg_lo:[0,1] neg_hi:[0,1]
	s_waitcnt lgkmcnt(4)
	v_pk_mul_f32 v[44:45], v[170:171], v[20:21]
	v_pk_fma_f32 v[24:25], v[24:25], 2.0, v[28:29] op_sel_hi:[1,0,1] neg_lo:[0,0,1] neg_hi:[0,0,1]
	ds_write_b64 v205, v[24:25]
	ds_write_b64 v40, v[28:29] offset:4624
	v_pk_fma_f32 v[24:25], v[54:55], v[30:31], v[42:43] op_sel:[0,0,1] op_sel_hi:[1,1,0]
	v_pk_fma_f32 v[28:29], v[54:55], v[30:31], v[42:43] op_sel:[0,0,1] op_sel_hi:[1,1,0] neg_lo:[0,0,1] neg_hi:[0,0,1]
	v_pk_mul_f32 v[58:59], v[168:169], v[22:23]
	v_mov_b32_e32 v25, v29
	v_pk_add_f32 v[24:25], v[26:27], v[24:25] neg_lo:[0,1] neg_hi:[0,1]
	s_waitcnt lgkmcnt(4)
	v_pk_mul_f32 v[60:61], v[160:161], v[12:13]
	v_pk_fma_f32 v[26:27], v[26:27], 2.0, v[24:25] op_sel_hi:[1,0,1] neg_lo:[0,0,1] neg_hi:[0,0,1]
	ds_write_b64 v205, v[26:27] offset:544
	ds_write_b64 v40, v[24:25] offset:5168
	v_pk_fma_f32 v[24:25], v[52:53], v[20:21], v[44:45] op_sel:[0,0,1] op_sel_hi:[1,1,0]
	v_pk_fma_f32 v[20:21], v[52:53], v[20:21], v[44:45] op_sel:[0,0,1] op_sel_hi:[1,1,0] neg_lo:[0,0,1] neg_hi:[0,0,1]
	v_pk_mul_f32 v[62:63], v[156:157], v[14:15]
	v_mov_b32_e32 v25, v21
	v_pk_add_f32 v[20:21], v[16:17], v[24:25] neg_lo:[0,1] neg_hi:[0,1]
	s_waitcnt lgkmcnt(4)
	v_pk_mul_f32 v[64:65], v[134:135], v[4:5]
	v_pk_fma_f32 v[16:17], v[16:17], 2.0, v[20:21] op_sel_hi:[1,0,1] neg_lo:[0,0,1] neg_hi:[0,0,1]
	ds_write_b64 v205, v[16:17] offset:1088
	ds_write_b64 v40, v[20:21] offset:5712
	v_pk_fma_f32 v[16:17], v[50:51], v[22:23], v[58:59] op_sel:[0,0,1] op_sel_hi:[1,1,0]
	v_pk_fma_f32 v[20:21], v[50:51], v[22:23], v[58:59] op_sel:[0,0,1] op_sel_hi:[1,1,0] neg_lo:[0,0,1] neg_hi:[0,0,1]
	v_pk_mul_f32 v[66:67], v[66:67], v[6:7]
	v_mov_b32_e32 v17, v21
	v_pk_add_f32 v[16:17], v[18:19], v[16:17] neg_lo:[0,1] neg_hi:[0,1]
	s_nop 0
	v_pk_fma_f32 v[18:19], v[18:19], 2.0, v[16:17] op_sel_hi:[1,0,1] neg_lo:[0,0,1] neg_hi:[0,0,1]
	ds_write_b64 v205, v[18:19] offset:1632
	ds_write_b64 v40, v[16:17] offset:6256
	v_pk_fma_f32 v[16:17], v[46:47], v[12:13], v[60:61] op_sel:[0,0,1] op_sel_hi:[1,1,0]
	v_pk_fma_f32 v[12:13], v[46:47], v[12:13], v[60:61] op_sel:[0,0,1] op_sel_hi:[1,1,0] neg_lo:[0,0,1] neg_hi:[0,0,1]
	s_nop 0
	v_mov_b32_e32 v17, v13
	v_pk_add_f32 v[12:13], v[8:9], v[16:17] neg_lo:[0,1] neg_hi:[0,1]
	s_nop 0
	v_pk_fma_f32 v[8:9], v[8:9], 2.0, v[12:13] op_sel_hi:[1,0,1] neg_lo:[0,0,1] neg_hi:[0,0,1]
	ds_write_b64 v205, v[8:9] offset:2176
	ds_write_b64 v40, v[12:13] offset:6800
	v_pk_fma_f32 v[8:9], v[38:39], v[14:15], v[62:63] op_sel:[0,0,1] op_sel_hi:[1,1,0]
	v_pk_fma_f32 v[12:13], v[38:39], v[14:15], v[62:63] op_sel:[0,0,1] op_sel_hi:[1,1,0] neg_lo:[0,0,1] neg_hi:[0,0,1]
	s_nop 0
	v_mov_b32_e32 v9, v13
	v_pk_add_f32 v[8:9], v[10:11], v[8:9] neg_lo:[0,1] neg_hi:[0,1]
	s_nop 0
	v_pk_fma_f32 v[10:11], v[10:11], 2.0, v[8:9] op_sel_hi:[1,0,1] neg_lo:[0,0,1] neg_hi:[0,0,1]
	ds_write_b64 v205, v[10:11] offset:2720
	v_accvgpr_read_b32 v10, a68
	ds_write_b64 v10, v[8:9] offset:7344
	v_pk_fma_f32 v[8:9], v[36:37], v[4:5], v[64:65] op_sel:[0,0,1] op_sel_hi:[1,1,0]
	v_pk_fma_f32 v[4:5], v[36:37], v[4:5], v[64:65] op_sel:[0,0,1] op_sel_hi:[1,1,0] neg_lo:[0,0,1] neg_hi:[0,0,1]
	s_nop 0
	v_mov_b32_e32 v9, v5
	v_pk_add_f32 v[4:5], v[0:1], v[8:9] neg_lo:[0,1] neg_hi:[0,1]
	ds_write_b64 v34, v[4:5] offset:4624
	v_pk_fma_f32 v[0:1], v[0:1], 2.0, v[4:5] op_sel_hi:[1,0,1] neg_lo:[0,0,1] neg_hi:[0,0,1]
	v_pk_fma_f32 v[4:5], v[32:33], v[6:7], v[66:67] op_sel:[0,0,1] op_sel_hi:[1,1,0]
	v_pk_fma_f32 v[6:7], v[32:33], v[6:7], v[66:67] op_sel:[0,0,1] op_sel_hi:[1,1,0] neg_lo:[0,0,1] neg_hi:[0,0,1]
	s_nop 0
	v_mov_b32_e32 v5, v7
	v_pk_add_f32 v[4:5], v[2:3], v[4:5] neg_lo:[0,1] neg_hi:[0,1]
	s_nop 0
	v_pk_fma_f32 v[2:3], v[2:3], 2.0, v[4:5] op_sel_hi:[1,0,1] neg_lo:[0,0,1] neg_hi:[0,0,1]
	ds_write2_b64 v126, v[0:1], v[2:3] offset0:152 offset1:220
	ds_write_b64 v35, v[4:5] offset:4624
	s_and_saveexec_b64 s[8:9], s[0:1]
	s_cbranch_execz .LBB0_17
; %bb.16:
	v_accvgpr_read_b32 v4, a66
	v_accvgpr_read_b32 v5, a67
	v_pk_mul_f32 v[0:1], v[4:5], v[102:103] op_sel:[0,1]
	s_nop 0
	v_pk_fma_f32 v[2:3], v[4:5], v[102:103], v[0:1] op_sel:[0,0,1] op_sel_hi:[1,1,0]
	v_pk_fma_f32 v[0:1], v[4:5], v[102:103], v[0:1] op_sel:[0,0,1] op_sel_hi:[1,0,0] neg_lo:[1,0,0] neg_hi:[1,0,0]
	s_nop 0
	v_mov_b32_e32 v3, v1
	v_pk_add_f32 v[0:1], v[48:49], v[2:3] neg_lo:[0,1] neg_hi:[0,1]
	s_nop 0
	v_pk_fma_f32 v[2:3], v[48:49], 2.0, v[0:1] op_sel_hi:[1,0,1] neg_lo:[0,0,1] neg_hi:[0,0,1]
	ds_write_b64 v205, v[2:3] offset:4352
	ds_write_b64 v10, v[0:1] offset:8976
.LBB0_17:
	s_or_b64 exec, exec, s[8:9]
	v_accvgpr_read_b32 v10, a18
	s_waitcnt lgkmcnt(0)
	s_barrier
	ds_read2_b64 v[0:3], v205 offset1:68
	v_mad_u64_u32 v[6:7], s[0:1], s6, v10, 0
	v_mov_b32_e32 v8, v7
	v_mad_u64_u32 v[8:9], s[0:1], s7, v10, v[8:9]
	v_accvgpr_read_b32 v10, a36
	v_accvgpr_read_b32 v11, a37
	v_mov_b32_e32 v7, v8
	s_waitcnt lgkmcnt(0)
	v_mul_f32_e32 v8, v11, v1
	v_fmac_f32_e32 v8, v10, v0
	v_mul_f32_e32 v0, v11, v0
	s_mov_b32 s0, 0xd10d4986
	v_fma_f32 v0, v10, v1, -v0
	v_cvt_f64_f32_e32 v[8:9], v8
	s_mov_b32 s1, 0x3f4c5894
	v_cvt_f64_f32_e32 v[0:1], v0
	v_mul_f64 v[8:9], v[8:9], s[0:1]
	v_mul_f64 v[0:1], v[0:1], s[0:1]
	v_accvgpr_read_b32 v12, a10
	v_mov_b32_e32 v4, s2
	v_mov_b32_e32 v5, s3
	v_cvt_f32_f64_e32 v8, v[8:9]
	v_cvt_f32_f64_e32 v9, v[0:1]
	v_mad_u64_u32 v[0:1], s[2:3], s4, v12, 0
	v_mov_b32_e32 v10, v1
	v_mad_u64_u32 v[10:11], s[2:3], s5, v12, v[10:11]
	v_mov_b32_e32 v1, v10
	v_lshl_add_u64 v[4:5], v[6:7], 3, v[4:5]
	v_lshl_add_u64 v[4:5], v[0:1], 3, v[4:5]
	global_store_dwordx2 v[4:5], v[8:9], off
	v_accvgpr_read_b32 v8, a34
	v_accvgpr_read_b32 v9, a35
	v_mul_f32_e32 v0, v9, v3
	v_fmac_f32_e32 v0, v8, v2
	v_cvt_f64_f32_e32 v[0:1], v0
	v_mul_f64 v[0:1], v[0:1], s[0:1]
	v_cvt_f32_f64_e32 v6, v[0:1]
	v_mul_f32_e32 v0, v9, v2
	v_fma_f32 v0, v8, v3, -v0
	v_cvt_f64_f32_e32 v[0:1], v0
	v_mul_f64 v[0:1], v[0:1], s[0:1]
	v_cvt_f32_f64_e32 v7, v[0:1]
	ds_read2_b64 v[0:3], v205 offset0:136 offset1:204
	v_mov_b32_e32 v8, 0x220
	v_mad_u64_u32 v[4:5], s[2:3], s4, v8, v[4:5]
	s_mul_i32 s2, s5, 0x220
	v_accvgpr_read_b32 v10, a28
	v_add_u32_e32 v5, s2, v5
	v_accvgpr_read_b32 v11, a29
	global_store_dwordx2 v[4:5], v[6:7], off
	s_waitcnt lgkmcnt(0)
	v_mul_f32_e32 v6, v11, v1
	v_fmac_f32_e32 v6, v10, v0
	v_mul_f32_e32 v0, v11, v0
	v_fma_f32 v0, v10, v1, -v0
	v_cvt_f64_f32_e32 v[6:7], v6
	v_cvt_f64_f32_e32 v[0:1], v0
	v_accvgpr_read_b32 v10, a26
	v_mul_f64 v[6:7], v[6:7], s[0:1]
	v_mul_f64 v[0:1], v[0:1], s[0:1]
	v_accvgpr_read_b32 v11, a27
	v_cvt_f32_f64_e32 v6, v[6:7]
	v_cvt_f32_f64_e32 v7, v[0:1]
	v_mul_f32_e32 v0, v11, v3
	v_fmac_f32_e32 v0, v10, v2
	v_mad_u64_u32 v[4:5], s[6:7], s4, v8, v[4:5]
	v_cvt_f64_f32_e32 v[0:1], v0
	v_add_u32_e32 v5, s2, v5
	v_mul_f64 v[0:1], v[0:1], s[0:1]
	global_store_dwordx2 v[4:5], v[6:7], off
	v_cvt_f32_f64_e32 v6, v[0:1]
	v_mul_f32_e32 v0, v11, v2
	v_fma_f32 v0, v10, v3, -v0
	v_cvt_f64_f32_e32 v[0:1], v0
	v_mul_f64 v[0:1], v[0:1], s[0:1]
	v_add_u32_e32 v9, 0x800, v205
	v_cvt_f32_f64_e32 v7, v[0:1]
	ds_read2_b64 v[0:3], v9 offset0:16 offset1:84
	v_mad_u64_u32 v[4:5], s[6:7], s4, v8, v[4:5]
	v_accvgpr_read_b32 v10, a32
	v_add_u32_e32 v5, s2, v5
	v_accvgpr_read_b32 v11, a33
	global_store_dwordx2 v[4:5], v[6:7], off
	s_waitcnt lgkmcnt(0)
	v_mul_f32_e32 v6, v11, v1
	v_fmac_f32_e32 v6, v10, v0
	v_mul_f32_e32 v0, v11, v0
	v_fma_f32 v0, v10, v1, -v0
	v_cvt_f64_f32_e32 v[6:7], v6
	v_cvt_f64_f32_e32 v[0:1], v0
	v_accvgpr_read_b32 v10, a30
	v_mul_f64 v[6:7], v[6:7], s[0:1]
	v_mul_f64 v[0:1], v[0:1], s[0:1]
	v_accvgpr_read_b32 v11, a31
	v_cvt_f32_f64_e32 v6, v[6:7]
	v_cvt_f32_f64_e32 v7, v[0:1]
	v_mul_f32_e32 v0, v11, v3
	v_fmac_f32_e32 v0, v10, v2
	v_mad_u64_u32 v[4:5], s[6:7], s4, v8, v[4:5]
	v_cvt_f64_f32_e32 v[0:1], v0
	v_add_u32_e32 v5, s2, v5
	v_mul_f64 v[0:1], v[0:1], s[0:1]
	global_store_dwordx2 v[4:5], v[6:7], off
	v_cvt_f32_f64_e32 v6, v[0:1]
	v_mul_f32_e32 v0, v11, v2
	v_fma_f32 v0, v10, v3, -v0
	v_cvt_f64_f32_e32 v[0:1], v0
	v_mul_f64 v[0:1], v[0:1], s[0:1]
	v_cvt_f32_f64_e32 v7, v[0:1]
	ds_read2_b64 v[0:3], v9 offset0:152 offset1:220
	v_mad_u64_u32 v[4:5], s[6:7], s4, v8, v[4:5]
	v_accvgpr_read_b32 v10, a22
	v_add_u32_e32 v5, s2, v5
	v_accvgpr_read_b32 v11, a23
	global_store_dwordx2 v[4:5], v[6:7], off
	s_waitcnt lgkmcnt(0)
	v_mul_f32_e32 v6, v11, v1
	v_fmac_f32_e32 v6, v10, v0
	v_mul_f32_e32 v0, v11, v0
	v_fma_f32 v0, v10, v1, -v0
	v_cvt_f64_f32_e32 v[6:7], v6
	v_cvt_f64_f32_e32 v[0:1], v0
	v_accvgpr_read_b32 v10, a16
	v_mul_f64 v[6:7], v[6:7], s[0:1]
	v_mul_f64 v[0:1], v[0:1], s[0:1]
	v_accvgpr_read_b32 v11, a17
	v_cvt_f32_f64_e32 v6, v[6:7]
	v_cvt_f32_f64_e32 v7, v[0:1]
	v_mul_f32_e32 v0, v11, v3
	v_fmac_f32_e32 v0, v10, v2
	v_mad_u64_u32 v[4:5], s[6:7], s4, v8, v[4:5]
	v_cvt_f64_f32_e32 v[0:1], v0
	v_add_u32_e32 v5, s2, v5
	v_mul_f64 v[0:1], v[0:1], s[0:1]
	global_store_dwordx2 v[4:5], v[6:7], off
	v_cvt_f32_f64_e32 v6, v[0:1]
	v_mul_f32_e32 v0, v11, v2
	v_fma_f32 v0, v10, v3, -v0
	v_cvt_f64_f32_e32 v[0:1], v0
	v_mul_f64 v[0:1], v[0:1], s[0:1]
	v_add_u32_e32 v9, 0x1000, v205
	v_cvt_f32_f64_e32 v7, v[0:1]
	ds_read2_b64 v[0:3], v9 offset0:32 offset1:100
	v_mad_u64_u32 v[4:5], s[6:7], s4, v8, v[4:5]
	v_accvgpr_read_b32 v10, a24
	v_add_u32_e32 v5, s2, v5
	v_accvgpr_read_b32 v11, a25
	global_store_dwordx2 v[4:5], v[6:7], off
	s_waitcnt lgkmcnt(0)
	v_mul_f32_e32 v6, v11, v1
	v_fmac_f32_e32 v6, v10, v0
	v_mul_f32_e32 v0, v11, v0
	v_fma_f32 v0, v10, v1, -v0
	v_cvt_f64_f32_e32 v[6:7], v6
	v_cvt_f64_f32_e32 v[0:1], v0
	v_accvgpr_read_b32 v10, a20
	v_mul_f64 v[6:7], v[6:7], s[0:1]
	v_mul_f64 v[0:1], v[0:1], s[0:1]
	v_accvgpr_read_b32 v11, a21
	v_cvt_f32_f64_e32 v6, v[6:7]
	v_cvt_f32_f64_e32 v7, v[0:1]
	v_mul_f32_e32 v0, v11, v3
	v_fmac_f32_e32 v0, v10, v2
	v_mad_u64_u32 v[4:5], s[6:7], s4, v8, v[4:5]
	v_cvt_f64_f32_e32 v[0:1], v0
	v_add_u32_e32 v5, s2, v5
	v_mul_f64 v[0:1], v[0:1], s[0:1]
	global_store_dwordx2 v[4:5], v[6:7], off
	v_cvt_f32_f64_e32 v6, v[0:1]
	v_mul_f32_e32 v0, v11, v2
	v_fma_f32 v0, v10, v3, -v0
	v_cvt_f64_f32_e32 v[0:1], v0
	v_mul_f64 v[0:1], v[0:1], s[0:1]
	v_cvt_f32_f64_e32 v7, v[0:1]
	ds_read2_b64 v[0:3], v9 offset0:168 offset1:236
	v_mad_u64_u32 v[4:5], s[6:7], s4, v8, v[4:5]
	v_accvgpr_read_b32 v10, a14
	v_add_u32_e32 v5, s2, v5
	v_accvgpr_read_b32 v11, a15
	global_store_dwordx2 v[4:5], v[6:7], off
	s_waitcnt lgkmcnt(0)
	v_mul_f32_e32 v6, v11, v1
	v_fmac_f32_e32 v6, v10, v0
	v_mul_f32_e32 v0, v11, v0
	v_fma_f32 v0, v10, v1, -v0
	v_cvt_f64_f32_e32 v[6:7], v6
	v_cvt_f64_f32_e32 v[0:1], v0
	v_mul_f64 v[6:7], v[6:7], s[0:1]
	v_mul_f64 v[0:1], v[0:1], s[0:1]
	v_accvgpr_read_b32 v11, a7
	v_cvt_f32_f64_e32 v6, v[6:7]
	v_cvt_f32_f64_e32 v7, v[0:1]
	v_accvgpr_read_b32 v10, a6
	v_mul_f32_e32 v0, v11, v3
	v_fmac_f32_e32 v0, v10, v2
	v_mad_u64_u32 v[4:5], s[6:7], s4, v8, v[4:5]
	v_cvt_f64_f32_e32 v[0:1], v0
	v_add_u32_e32 v5, s2, v5
	v_mul_f64 v[0:1], v[0:1], s[0:1]
	global_store_dwordx2 v[4:5], v[6:7], off
	v_cvt_f32_f64_e32 v6, v[0:1]
	v_mul_f32_e32 v0, v11, v2
	v_fma_f32 v0, v10, v3, -v0
	v_cvt_f64_f32_e32 v[0:1], v0
	v_mul_f64 v[0:1], v[0:1], s[0:1]
	v_add_u32_e32 v9, 0x1800, v205
	v_cvt_f32_f64_e32 v7, v[0:1]
	ds_read2_b64 v[0:3], v9 offset0:48 offset1:116
	v_mad_u64_u32 v[4:5], s[6:7], s4, v8, v[4:5]
	v_accvgpr_read_b32 v10, a12
	v_add_u32_e32 v5, s2, v5
	v_accvgpr_read_b32 v11, a13
	global_store_dwordx2 v[4:5], v[6:7], off
	s_waitcnt lgkmcnt(0)
	v_mul_f32_e32 v6, v11, v1
	v_fmac_f32_e32 v6, v10, v0
	v_mul_f32_e32 v0, v11, v0
	v_fma_f32 v0, v10, v1, -v0
	v_cvt_f64_f32_e32 v[6:7], v6
	v_cvt_f64_f32_e32 v[0:1], v0
	v_mul_f64 v[6:7], v[6:7], s[0:1]
	v_mul_f64 v[0:1], v[0:1], s[0:1]
	v_accvgpr_read_b32 v11, a9
	v_cvt_f32_f64_e32 v6, v[6:7]
	v_cvt_f32_f64_e32 v7, v[0:1]
	v_accvgpr_read_b32 v10, a8
	v_mul_f32_e32 v0, v11, v3
	v_fmac_f32_e32 v0, v10, v2
	v_mad_u64_u32 v[4:5], s[6:7], s4, v8, v[4:5]
	v_cvt_f64_f32_e32 v[0:1], v0
	v_add_u32_e32 v5, s2, v5
	v_mul_f64 v[0:1], v[0:1], s[0:1]
	global_store_dwordx2 v[4:5], v[6:7], off
	v_cvt_f32_f64_e32 v6, v[0:1]
	v_mul_f32_e32 v0, v11, v2
	v_fma_f32 v0, v10, v3, -v0
	v_cvt_f64_f32_e32 v[0:1], v0
	v_mul_f64 v[0:1], v[0:1], s[0:1]
	v_cvt_f32_f64_e32 v7, v[0:1]
	ds_read2_b64 v[0:3], v9 offset0:184 offset1:252
	v_mad_u64_u32 v[4:5], s[6:7], s4, v8, v[4:5]
	v_add_u32_e32 v5, s2, v5
	v_accvgpr_read_b32 v11, a5
	global_store_dwordx2 v[4:5], v[6:7], off
	v_accvgpr_read_b32 v10, a4
	s_waitcnt lgkmcnt(0)
	v_mul_f32_e32 v6, v11, v1
	v_fmac_f32_e32 v6, v10, v0
	v_mul_f32_e32 v0, v11, v0
	v_fma_f32 v0, v10, v1, -v0
	v_cvt_f64_f32_e32 v[6:7], v6
	v_cvt_f64_f32_e32 v[0:1], v0
	v_mul_f64 v[6:7], v[6:7], s[0:1]
	v_mul_f64 v[0:1], v[0:1], s[0:1]
	v_cvt_f32_f64_e32 v6, v[6:7]
	v_cvt_f32_f64_e32 v7, v[0:1]
	v_mad_u64_u32 v[0:1], s[6:7], s4, v8, v[4:5]
	v_add_u32_e32 v1, s2, v1
	global_store_dwordx2 v[0:1], v[6:7], off
	v_accvgpr_read_b32 v7, a3
	v_accvgpr_read_b32 v6, a2
	v_mul_f32_e32 v4, v7, v3
	v_fmac_f32_e32 v4, v6, v2
	v_mul_f32_e32 v2, v7, v2
	v_fma_f32 v2, v6, v3, -v2
	v_cvt_f64_f32_e32 v[4:5], v4
	v_cvt_f64_f32_e32 v[2:3], v2
	v_mul_f64 v[4:5], v[4:5], s[0:1]
	v_mul_f64 v[2:3], v[2:3], s[0:1]
	v_cvt_f32_f64_e32 v4, v[4:5]
	v_cvt_f32_f64_e32 v5, v[2:3]
	ds_read_b64 v[2:3], v205 offset:8704
	v_mad_u64_u32 v[0:1], s[6:7], s4, v8, v[0:1]
	v_add_u32_e32 v1, s2, v1
	v_accvgpr_read_b32 v7, a1
	global_store_dwordx2 v[0:1], v[4:5], off
	v_accvgpr_read_b32 v6, a0
	s_waitcnt lgkmcnt(0)
	v_mul_f32_e32 v4, v7, v3
	v_fmac_f32_e32 v4, v6, v2
	v_mul_f32_e32 v2, v7, v2
	v_fma_f32 v2, v6, v3, -v2
	v_cvt_f64_f32_e32 v[4:5], v4
	v_cvt_f64_f32_e32 v[2:3], v2
	v_mul_f64 v[4:5], v[4:5], s[0:1]
	v_mul_f64 v[2:3], v[2:3], s[0:1]
	v_mad_u64_u32 v[0:1], s[0:1], s4, v8, v[0:1]
	v_cvt_f32_f64_e32 v4, v[4:5]
	v_cvt_f32_f64_e32 v5, v[2:3]
	v_add_u32_e32 v1, s2, v1
	global_store_dwordx2 v[0:1], v[4:5], off
.LBB0_18:
	s_endpgm
	.section	.rodata,"a",@progbits
	.p2align	6, 0x0
	.amdhsa_kernel bluestein_single_fwd_len1156_dim1_sp_op_CI_CI
		.amdhsa_group_segment_fixed_size 27744
		.amdhsa_private_segment_fixed_size 0
		.amdhsa_kernarg_size 104
		.amdhsa_user_sgpr_count 2
		.amdhsa_user_sgpr_dispatch_ptr 0
		.amdhsa_user_sgpr_queue_ptr 0
		.amdhsa_user_sgpr_kernarg_segment_ptr 1
		.amdhsa_user_sgpr_dispatch_id 0
		.amdhsa_user_sgpr_kernarg_preload_length 0
		.amdhsa_user_sgpr_kernarg_preload_offset 0
		.amdhsa_user_sgpr_private_segment_size 0
		.amdhsa_uses_dynamic_stack 0
		.amdhsa_enable_private_segment 0
		.amdhsa_system_sgpr_workgroup_id_x 1
		.amdhsa_system_sgpr_workgroup_id_y 0
		.amdhsa_system_sgpr_workgroup_id_z 0
		.amdhsa_system_sgpr_workgroup_info 0
		.amdhsa_system_vgpr_workitem_id 0
		.amdhsa_next_free_vgpr 354
		.amdhsa_next_free_sgpr 82
		.amdhsa_accum_offset 256
		.amdhsa_reserve_vcc 1
		.amdhsa_float_round_mode_32 0
		.amdhsa_float_round_mode_16_64 0
		.amdhsa_float_denorm_mode_32 3
		.amdhsa_float_denorm_mode_16_64 3
		.amdhsa_dx10_clamp 1
		.amdhsa_ieee_mode 1
		.amdhsa_fp16_overflow 0
		.amdhsa_tg_split 0
		.amdhsa_exception_fp_ieee_invalid_op 0
		.amdhsa_exception_fp_denorm_src 0
		.amdhsa_exception_fp_ieee_div_zero 0
		.amdhsa_exception_fp_ieee_overflow 0
		.amdhsa_exception_fp_ieee_underflow 0
		.amdhsa_exception_fp_ieee_inexact 0
		.amdhsa_exception_int_div_zero 0
	.end_amdhsa_kernel
	.text
.Lfunc_end0:
	.size	bluestein_single_fwd_len1156_dim1_sp_op_CI_CI, .Lfunc_end0-bluestein_single_fwd_len1156_dim1_sp_op_CI_CI
                                        ; -- End function
	.section	.AMDGPU.csdata,"",@progbits
; Kernel info:
; codeLenInByte = 27120
; NumSgprs: 88
; NumVgprs: 256
; NumAgprs: 98
; TotalNumVgprs: 354
; ScratchSize: 0
; MemoryBound: 0
; FloatMode: 240
; IeeeMode: 1
; LDSByteSize: 27744 bytes/workgroup (compile time only)
; SGPRBlocks: 10
; VGPRBlocks: 44
; NumSGPRsForWavesPerEU: 88
; NumVGPRsForWavesPerEU: 354
; AccumOffset: 256
; Occupancy: 1
; WaveLimiterHint : 1
; COMPUTE_PGM_RSRC2:SCRATCH_EN: 0
; COMPUTE_PGM_RSRC2:USER_SGPR: 2
; COMPUTE_PGM_RSRC2:TRAP_HANDLER: 0
; COMPUTE_PGM_RSRC2:TGID_X_EN: 1
; COMPUTE_PGM_RSRC2:TGID_Y_EN: 0
; COMPUTE_PGM_RSRC2:TGID_Z_EN: 0
; COMPUTE_PGM_RSRC2:TIDIG_COMP_CNT: 0
; COMPUTE_PGM_RSRC3_GFX90A:ACCUM_OFFSET: 63
; COMPUTE_PGM_RSRC3_GFX90A:TG_SPLIT: 0
	.text
	.p2alignl 6, 3212836864
	.fill 256, 4, 3212836864
	.type	__hip_cuid_c6d28b60635ddf9f,@object ; @__hip_cuid_c6d28b60635ddf9f
	.section	.bss,"aw",@nobits
	.globl	__hip_cuid_c6d28b60635ddf9f
__hip_cuid_c6d28b60635ddf9f:
	.byte	0                               ; 0x0
	.size	__hip_cuid_c6d28b60635ddf9f, 1

	.ident	"AMD clang version 19.0.0git (https://github.com/RadeonOpenCompute/llvm-project roc-6.4.0 25133 c7fe45cf4b819c5991fe208aaa96edf142730f1d)"
	.section	".note.GNU-stack","",@progbits
	.addrsig
	.addrsig_sym __hip_cuid_c6d28b60635ddf9f
	.amdgpu_metadata
---
amdhsa.kernels:
  - .agpr_count:     98
    .args:
      - .actual_access:  read_only
        .address_space:  global
        .offset:         0
        .size:           8
        .value_kind:     global_buffer
      - .actual_access:  read_only
        .address_space:  global
        .offset:         8
        .size:           8
        .value_kind:     global_buffer
      - .actual_access:  read_only
        .address_space:  global
        .offset:         16
        .size:           8
        .value_kind:     global_buffer
      - .actual_access:  read_only
        .address_space:  global
        .offset:         24
        .size:           8
        .value_kind:     global_buffer
      - .actual_access:  read_only
        .address_space:  global
        .offset:         32
        .size:           8
        .value_kind:     global_buffer
      - .offset:         40
        .size:           8
        .value_kind:     by_value
      - .address_space:  global
        .offset:         48
        .size:           8
        .value_kind:     global_buffer
      - .address_space:  global
        .offset:         56
        .size:           8
        .value_kind:     global_buffer
      - .address_space:  global
        .offset:         64
        .size:           8
        .value_kind:     global_buffer
      - .address_space:  global
        .offset:         72
        .size:           8
        .value_kind:     global_buffer
      - .offset:         80
        .size:           4
        .value_kind:     by_value
      - .address_space:  global
        .offset:         88
        .size:           8
        .value_kind:     global_buffer
      - .address_space:  global
        .offset:         96
        .size:           8
        .value_kind:     global_buffer
    .group_segment_fixed_size: 27744
    .kernarg_segment_align: 8
    .kernarg_segment_size: 104
    .language:       OpenCL C
    .language_version:
      - 2
      - 0
    .max_flat_workgroup_size: 204
    .name:           bluestein_single_fwd_len1156_dim1_sp_op_CI_CI
    .private_segment_fixed_size: 0
    .sgpr_count:     88
    .sgpr_spill_count: 0
    .symbol:         bluestein_single_fwd_len1156_dim1_sp_op_CI_CI.kd
    .uniform_work_group_size: 1
    .uses_dynamic_stack: false
    .vgpr_count:     354
    .vgpr_spill_count: 0
    .wavefront_size: 64
amdhsa.target:   amdgcn-amd-amdhsa--gfx950
amdhsa.version:
  - 1
  - 2
...

	.end_amdgpu_metadata
